;; amdgpu-corpus repo=ROCm/rocFFT kind=compiled arch=gfx906 opt=O3
	.text
	.amdgcn_target "amdgcn-amd-amdhsa--gfx906"
	.amdhsa_code_object_version 6
	.protected	fft_rtc_fwd_len3125_factors_5_5_5_5_5_wgs_125_tpt_125_halfLds_sp_op_CI_CI_unitstride_sbrr_dirReg ; -- Begin function fft_rtc_fwd_len3125_factors_5_5_5_5_5_wgs_125_tpt_125_halfLds_sp_op_CI_CI_unitstride_sbrr_dirReg
	.globl	fft_rtc_fwd_len3125_factors_5_5_5_5_5_wgs_125_tpt_125_halfLds_sp_op_CI_CI_unitstride_sbrr_dirReg
	.p2align	8
	.type	fft_rtc_fwd_len3125_factors_5_5_5_5_5_wgs_125_tpt_125_halfLds_sp_op_CI_CI_unitstride_sbrr_dirReg,@function
fft_rtc_fwd_len3125_factors_5_5_5_5_5_wgs_125_tpt_125_halfLds_sp_op_CI_CI_unitstride_sbrr_dirReg: ; @fft_rtc_fwd_len3125_factors_5_5_5_5_5_wgs_125_tpt_125_halfLds_sp_op_CI_CI_unitstride_sbrr_dirReg
; %bb.0:
	s_load_dwordx4 s[8:11], s[4:5], 0x58
	s_load_dwordx4 s[12:15], s[4:5], 0x0
	;; [unrolled: 1-line block ×3, first 2 shown]
	v_mul_u32_u24_e32 v1, 0x20d, v0
	v_mov_b32_e32 v7, 0
	v_mov_b32_e32 v5, 0
	s_waitcnt lgkmcnt(0)
	v_cmp_lt_u64_e64 s[0:1], s[14:15], 2
	v_add_u32_sdwa v9, s6, v1 dst_sel:DWORD dst_unused:UNUSED_PAD src0_sel:DWORD src1_sel:WORD_1
	v_mov_b32_e32 v10, v7
	s_and_b64 vcc, exec, s[0:1]
	v_mov_b32_e32 v6, 0
	s_cbranch_vccnz .LBB0_8
; %bb.1:
	s_load_dwordx2 s[0:1], s[4:5], 0x10
	s_add_u32 s2, s18, 8
	s_addc_u32 s3, s19, 0
	s_add_u32 s6, s16, 8
	s_addc_u32 s7, s17, 0
	v_mov_b32_e32 v5, 0
	s_waitcnt lgkmcnt(0)
	s_add_u32 s20, s0, 8
	v_mov_b32_e32 v6, 0
	v_mov_b32_e32 v1, v5
	s_addc_u32 s21, s1, 0
	s_mov_b64 s[22:23], 1
	v_mov_b32_e32 v2, v6
.LBB0_2:                                ; =>This Inner Loop Header: Depth=1
	s_load_dwordx2 s[24:25], s[20:21], 0x0
                                        ; implicit-def: $vgpr3_vgpr4
	s_waitcnt lgkmcnt(0)
	v_or_b32_e32 v8, s25, v10
	v_cmp_ne_u64_e32 vcc, 0, v[7:8]
	s_and_saveexec_b64 s[0:1], vcc
	s_xor_b64 s[26:27], exec, s[0:1]
	s_cbranch_execz .LBB0_4
; %bb.3:                                ;   in Loop: Header=BB0_2 Depth=1
	v_cvt_f32_u32_e32 v3, s24
	v_cvt_f32_u32_e32 v4, s25
	s_sub_u32 s0, 0, s24
	s_subb_u32 s1, 0, s25
	v_mac_f32_e32 v3, 0x4f800000, v4
	v_rcp_f32_e32 v3, v3
	v_mul_f32_e32 v3, 0x5f7ffffc, v3
	v_mul_f32_e32 v4, 0x2f800000, v3
	v_trunc_f32_e32 v4, v4
	v_mac_f32_e32 v3, 0xcf800000, v4
	v_cvt_u32_f32_e32 v4, v4
	v_cvt_u32_f32_e32 v3, v3
	v_mul_lo_u32 v8, s0, v4
	v_mul_hi_u32 v11, s0, v3
	v_mul_lo_u32 v13, s1, v3
	v_mul_lo_u32 v12, s0, v3
	v_add_u32_e32 v8, v11, v8
	v_add_u32_e32 v8, v8, v13
	v_mul_hi_u32 v11, v3, v12
	v_mul_lo_u32 v13, v3, v8
	v_mul_hi_u32 v15, v3, v8
	v_mul_hi_u32 v14, v4, v12
	v_mul_lo_u32 v12, v4, v12
	v_mul_hi_u32 v16, v4, v8
	v_add_co_u32_e32 v11, vcc, v11, v13
	v_addc_co_u32_e32 v13, vcc, 0, v15, vcc
	v_mul_lo_u32 v8, v4, v8
	v_add_co_u32_e32 v11, vcc, v11, v12
	v_addc_co_u32_e32 v11, vcc, v13, v14, vcc
	v_addc_co_u32_e32 v12, vcc, 0, v16, vcc
	v_add_co_u32_e32 v8, vcc, v11, v8
	v_addc_co_u32_e32 v11, vcc, 0, v12, vcc
	v_add_co_u32_e32 v3, vcc, v3, v8
	v_addc_co_u32_e32 v4, vcc, v4, v11, vcc
	v_mul_lo_u32 v8, s0, v4
	v_mul_hi_u32 v11, s0, v3
	v_mul_lo_u32 v12, s1, v3
	v_mul_lo_u32 v13, s0, v3
	v_add_u32_e32 v8, v11, v8
	v_add_u32_e32 v8, v8, v12
	v_mul_lo_u32 v14, v3, v8
	v_mul_hi_u32 v15, v3, v13
	v_mul_hi_u32 v16, v3, v8
	v_mul_hi_u32 v12, v4, v13
	v_mul_lo_u32 v13, v4, v13
	v_mul_hi_u32 v11, v4, v8
	v_add_co_u32_e32 v14, vcc, v15, v14
	v_addc_co_u32_e32 v15, vcc, 0, v16, vcc
	v_mul_lo_u32 v8, v4, v8
	v_add_co_u32_e32 v13, vcc, v14, v13
	v_addc_co_u32_e32 v12, vcc, v15, v12, vcc
	v_addc_co_u32_e32 v11, vcc, 0, v11, vcc
	v_add_co_u32_e32 v8, vcc, v12, v8
	v_addc_co_u32_e32 v11, vcc, 0, v11, vcc
	v_add_co_u32_e32 v8, vcc, v3, v8
	v_addc_co_u32_e32 v11, vcc, v4, v11, vcc
	v_mad_u64_u32 v[3:4], s[0:1], v9, v11, 0
	v_mul_hi_u32 v12, v9, v8
	v_add_co_u32_e32 v13, vcc, v12, v3
	v_addc_co_u32_e32 v14, vcc, 0, v4, vcc
	v_mad_u64_u32 v[3:4], s[0:1], v10, v8, 0
	v_mad_u64_u32 v[11:12], s[0:1], v10, v11, 0
	v_add_co_u32_e32 v3, vcc, v13, v3
	v_addc_co_u32_e32 v3, vcc, v14, v4, vcc
	v_addc_co_u32_e32 v4, vcc, 0, v12, vcc
	v_add_co_u32_e32 v8, vcc, v3, v11
	v_addc_co_u32_e32 v11, vcc, 0, v4, vcc
	v_mul_lo_u32 v12, s25, v8
	v_mul_lo_u32 v13, s24, v11
	v_mad_u64_u32 v[3:4], s[0:1], s24, v8, 0
	v_add3_u32 v4, v4, v13, v12
	v_sub_u32_e32 v12, v10, v4
	v_mov_b32_e32 v13, s25
	v_sub_co_u32_e32 v3, vcc, v9, v3
	v_subb_co_u32_e64 v12, s[0:1], v12, v13, vcc
	v_subrev_co_u32_e64 v13, s[0:1], s24, v3
	v_subbrev_co_u32_e64 v12, s[0:1], 0, v12, s[0:1]
	v_cmp_le_u32_e64 s[0:1], s25, v12
	v_cndmask_b32_e64 v14, 0, -1, s[0:1]
	v_cmp_le_u32_e64 s[0:1], s24, v13
	v_cndmask_b32_e64 v13, 0, -1, s[0:1]
	v_cmp_eq_u32_e64 s[0:1], s25, v12
	v_cndmask_b32_e64 v12, v14, v13, s[0:1]
	v_add_co_u32_e64 v13, s[0:1], 2, v8
	v_addc_co_u32_e64 v14, s[0:1], 0, v11, s[0:1]
	v_add_co_u32_e64 v15, s[0:1], 1, v8
	v_addc_co_u32_e64 v16, s[0:1], 0, v11, s[0:1]
	v_subb_co_u32_e32 v4, vcc, v10, v4, vcc
	v_cmp_ne_u32_e64 s[0:1], 0, v12
	v_cmp_le_u32_e32 vcc, s25, v4
	v_cndmask_b32_e64 v12, v16, v14, s[0:1]
	v_cndmask_b32_e64 v14, 0, -1, vcc
	v_cmp_le_u32_e32 vcc, s24, v3
	v_cndmask_b32_e64 v3, 0, -1, vcc
	v_cmp_eq_u32_e32 vcc, s25, v4
	v_cndmask_b32_e32 v3, v14, v3, vcc
	v_cmp_ne_u32_e32 vcc, 0, v3
	v_cndmask_b32_e64 v3, v15, v13, s[0:1]
	v_cndmask_b32_e32 v4, v11, v12, vcc
	v_cndmask_b32_e32 v3, v8, v3, vcc
.LBB0_4:                                ;   in Loop: Header=BB0_2 Depth=1
	s_andn2_saveexec_b64 s[0:1], s[26:27]
	s_cbranch_execz .LBB0_6
; %bb.5:                                ;   in Loop: Header=BB0_2 Depth=1
	v_cvt_f32_u32_e32 v3, s24
	s_sub_i32 s26, 0, s24
	v_rcp_iflag_f32_e32 v3, v3
	v_mul_f32_e32 v3, 0x4f7ffffe, v3
	v_cvt_u32_f32_e32 v3, v3
	v_mul_lo_u32 v4, s26, v3
	v_mul_hi_u32 v4, v3, v4
	v_add_u32_e32 v3, v3, v4
	v_mul_hi_u32 v3, v9, v3
	v_mul_lo_u32 v4, v3, s24
	v_add_u32_e32 v8, 1, v3
	v_sub_u32_e32 v4, v9, v4
	v_subrev_u32_e32 v11, s24, v4
	v_cmp_le_u32_e32 vcc, s24, v4
	v_cndmask_b32_e32 v4, v4, v11, vcc
	v_cndmask_b32_e32 v3, v3, v8, vcc
	v_add_u32_e32 v8, 1, v3
	v_cmp_le_u32_e32 vcc, s24, v4
	v_cndmask_b32_e32 v3, v3, v8, vcc
	v_mov_b32_e32 v4, v7
.LBB0_6:                                ;   in Loop: Header=BB0_2 Depth=1
	s_or_b64 exec, exec, s[0:1]
	v_mul_lo_u32 v8, v4, s24
	v_mul_lo_u32 v13, v3, s25
	v_mad_u64_u32 v[11:12], s[0:1], v3, s24, 0
	s_load_dwordx2 s[0:1], s[6:7], 0x0
	s_load_dwordx2 s[24:25], s[2:3], 0x0
	v_add3_u32 v8, v12, v13, v8
	v_sub_co_u32_e32 v9, vcc, v9, v11
	v_subb_co_u32_e32 v8, vcc, v10, v8, vcc
	s_waitcnt lgkmcnt(0)
	v_mul_lo_u32 v10, s0, v8
	v_mul_lo_u32 v11, s1, v9
	v_mad_u64_u32 v[5:6], s[0:1], s0, v9, v[5:6]
	v_mul_lo_u32 v8, s24, v8
	v_mul_lo_u32 v12, s25, v9
	v_mad_u64_u32 v[1:2], s[0:1], s24, v9, v[1:2]
	s_add_u32 s22, s22, 1
	s_addc_u32 s23, s23, 0
	s_add_u32 s2, s2, 8
	v_add3_u32 v2, v12, v2, v8
	s_addc_u32 s3, s3, 0
	v_mov_b32_e32 v8, s14
	s_add_u32 s6, s6, 8
	v_mov_b32_e32 v9, s15
	s_addc_u32 s7, s7, 0
	v_cmp_ge_u64_e32 vcc, s[22:23], v[8:9]
	s_add_u32 s20, s20, 8
	v_add3_u32 v6, v11, v6, v10
	s_addc_u32 s21, s21, 0
	s_cbranch_vccnz .LBB0_9
; %bb.7:                                ;   in Loop: Header=BB0_2 Depth=1
	v_mov_b32_e32 v10, v4
	v_mov_b32_e32 v9, v3
	s_branch .LBB0_2
.LBB0_8:
	v_mov_b32_e32 v1, v5
	v_mov_b32_e32 v3, v9
	;; [unrolled: 1-line block ×4, first 2 shown]
.LBB0_9:
	s_load_dwordx2 s[0:1], s[4:5], 0x28
	s_lshl_b64 s[6:7], s[14:15], 3
	s_add_u32 s2, s18, s6
	s_addc_u32 s3, s19, s7
                                        ; implicit-def: $vgpr70
	s_waitcnt lgkmcnt(0)
	v_cmp_gt_u64_e32 vcc, s[0:1], v[3:4]
	v_cmp_le_u64_e64 s[0:1], s[0:1], v[3:4]
	s_and_saveexec_b64 s[4:5], s[0:1]
	s_xor_b64 s[0:1], exec, s[4:5]
; %bb.10:
	s_mov_b32 s4, 0x20c49bb
	v_mul_hi_u32 v5, v0, s4
	v_mul_u32_u24_e32 v5, 0x7d, v5
	v_sub_u32_e32 v70, v0, v5
                                        ; implicit-def: $vgpr0
                                        ; implicit-def: $vgpr5_vgpr6
; %bb.11:
	s_or_saveexec_b64 s[4:5], s[0:1]
                                        ; implicit-def: $vgpr25
                                        ; implicit-def: $vgpr23
                                        ; implicit-def: $vgpr21
                                        ; implicit-def: $vgpr19
                                        ; implicit-def: $vgpr13
                                        ; implicit-def: $vgpr33
                                        ; implicit-def: $vgpr29
                                        ; implicit-def: $vgpr27
                                        ; implicit-def: $vgpr17
                                        ; implicit-def: $vgpr11
                                        ; implicit-def: $vgpr47
                                        ; implicit-def: $vgpr43
                                        ; implicit-def: $vgpr37
                                        ; implicit-def: $vgpr15
                                        ; implicit-def: $vgpr39
                                        ; implicit-def: $vgpr59
                                        ; implicit-def: $vgpr57
                                        ; implicit-def: $vgpr51
                                        ; implicit-def: $vgpr41
                                        ; implicit-def: $vgpr55
                                        ; implicit-def: $vgpr53
                                        ; implicit-def: $vgpr49
                                        ; implicit-def: $vgpr45
                                        ; implicit-def: $vgpr35
                                        ; implicit-def: $vgpr31
	s_xor_b64 exec, exec, s[4:5]
	s_cbranch_execz .LBB0_13
; %bb.12:
	s_add_u32 s0, s16, s6
	s_addc_u32 s1, s17, s7
	s_load_dwordx2 s[0:1], s[0:1], 0x0
	s_mov_b32 s6, 0x20c49bb
	v_mul_hi_u32 v9, v0, s6
	v_lshlrev_b64 v[5:6], 3, v[5:6]
	s_waitcnt lgkmcnt(0)
	v_mul_lo_u32 v10, s1, v3
	v_mul_lo_u32 v11, s0, v4
	v_mad_u64_u32 v[7:8], s[0:1], s0, v3, 0
	v_mul_u32_u24_e32 v9, 0x7d, v9
	v_sub_u32_e32 v70, v0, v9
	v_add3_u32 v8, v8, v11, v10
	v_lshlrev_b64 v[7:8], 3, v[7:8]
	v_mov_b32_e32 v0, s9
	v_add_co_u32_e64 v7, s[0:1], s8, v7
	v_addc_co_u32_e64 v0, s[0:1], v0, v8, s[0:1]
	v_add_co_u32_e64 v5, s[0:1], v7, v5
	v_addc_co_u32_e64 v0, s[0:1], v0, v6, s[0:1]
	v_lshlrev_b32_e32 v6, 3, v70
	v_add_co_u32_e64 v5, s[0:1], v5, v6
	v_addc_co_u32_e64 v6, s[0:1], 0, v0, s[0:1]
	s_movk_i32 s0, 0x1000
	v_add_co_u32_e64 v7, s[0:1], s0, v5
	v_addc_co_u32_e64 v8, s[0:1], 0, v6, s[0:1]
	s_movk_i32 s0, 0x2000
	;; [unrolled: 3-line block ×5, first 2 shown]
	v_add_co_u32_e64 v64, s[0:1], s0, v5
	v_addc_co_u32_e64 v65, s[0:1], 0, v6, s[0:1]
	global_load_dwordx2 v[14:15], v[7:8], off offset:2904
	global_load_dwordx2 v[30:31], v[5:6], off
	global_load_dwordx2 v[54:55], v[5:6], off offset:1000
	global_load_dwordx2 v[38:39], v[5:6], off offset:2000
	;; [unrolled: 1-line block ×13, first 2 shown]
                                        ; kill: killed $vgpr5 killed $vgpr6
                                        ; kill: killed $vgpr20 killed $vgpr21
                                        ; kill: killed $vgpr7 killed $vgpr8
	s_nop 0
	global_load_dwordx2 v[20:21], v[60:61], off offset:1712
	global_load_dwordx2 v[56:57], v[60:61], off offset:3712
	;; [unrolled: 1-line block ×10, first 2 shown]
.LBB0_13:
	s_or_b64 exec, exec, s[4:5]
	s_waitcnt vmcnt(17)
	v_add_f32_e32 v0, v34, v30
	s_waitcnt vmcnt(14)
	v_add_f32_e32 v0, v44, v0
	;; [unrolled: 2-line block ×4, first 2 shown]
	v_add_f32_e32 v0, v48, v44
	v_fma_f32 v0, -0.5, v0, v30
	v_sub_f32_e32 v6, v35, v53
	v_mov_b32_e32 v7, v0
	v_fmac_f32_e32 v7, 0x3f737871, v6
	v_sub_f32_e32 v8, v45, v49
	v_sub_f32_e32 v9, v34, v44
	;; [unrolled: 1-line block ×3, first 2 shown]
	v_fmac_f32_e32 v7, 0x3f167918, v8
	v_add_f32_e32 v9, v60, v9
	v_fmac_f32_e32 v7, 0x3e9e377a, v9
	v_add_f32_e32 v61, v56, v50
	v_mad_u32_u24 v76, v70, 20, 0
	v_fma_f32 v61, -0.5, v61, v54
	ds_write2_b32 v76, v5, v7 offset1:1
	v_sub_f32_e32 v5, v40, v50
	s_waitcnt vmcnt(3)
	v_sub_f32_e32 v7, v58, v56
	v_add_f32_e32 v60, v40, v54
	v_add_f32_e32 v5, v7, v5
	v_sub_f32_e32 v7, v41, v59
	v_mov_b32_e32 v62, v61
	v_add_f32_e32 v60, v50, v60
	v_fmac_f32_e32 v62, 0x3f737871, v7
	v_sub_f32_e32 v63, v51, v57
	v_add_f32_e32 v60, v56, v60
	v_fmac_f32_e32 v62, 0x3f167918, v63
	v_add_f32_e32 v60, v58, v60
	v_fmac_f32_e32 v62, 0x3e9e377a, v5
	v_add_u32_e32 v79, 0x9c4, v76
	v_add_f32_e32 v64, v42, v36
	ds_write2_b32 v79, v60, v62 offset1:1
	v_sub_f32_e32 v60, v14, v36
	s_waitcnt vmcnt(2)
	v_sub_f32_e32 v62, v46, v42
	v_fma_f32 v64, -0.5, v64, v38
	v_add_f32_e32 v60, v62, v60
	v_add_f32_e32 v62, v14, v38
	v_sub_f32_e32 v65, v15, v47
	v_mov_b32_e32 v66, v64
	v_add_f32_e32 v62, v36, v62
	v_fmac_f32_e32 v66, 0x3f737871, v65
	v_sub_f32_e32 v67, v37, v43
	v_add_f32_e32 v62, v42, v62
	v_fmac_f32_e32 v66, 0x3f167918, v67
	v_add_f32_e32 v62, v46, v62
	v_fmac_f32_e32 v66, 0x3e9e377a, v60
	v_add_u32_e32 v80, 0x1388, v76
	v_add_f32_e32 v68, v28, v26
	ds_write2_b32 v80, v62, v66 offset1:1
	v_sub_f32_e32 v62, v16, v26
	s_waitcnt vmcnt(1)
	v_sub_f32_e32 v66, v32, v28
	v_fma_f32 v68, -0.5, v68, v10
	;; [unrolled: 18-line block ×3, first 2 shown]
	v_add_f32_e32 v66, v71, v66
	v_add_f32_e32 v71, v18, v12
	v_sub_f32_e32 v74, v19, v25
	v_mov_b32_e32 v75, v73
	v_add_f32_e32 v71, v20, v71
	v_fmac_f32_e32 v75, 0x3f737871, v74
	v_sub_f32_e32 v77, v21, v23
	v_fmac_f32_e32 v0, 0xbf737871, v6
	v_add_f32_e32 v71, v22, v71
	v_fmac_f32_e32 v75, 0x3f167918, v77
	v_fmac_f32_e32 v0, 0xbf167918, v8
	v_add_f32_e32 v71, v24, v71
	v_fmac_f32_e32 v75, 0x3e9e377a, v66
	v_add_u32_e32 v82, 0x2710, v76
	v_fmac_f32_e32 v0, 0x3e9e377a, v9
	v_add_f32_e32 v9, v52, v34
	ds_write2_b32 v82, v71, v75 offset1:1
	v_fmac_f32_e32 v30, -0.5, v9
	v_sub_f32_e32 v9, v44, v34
	v_sub_f32_e32 v71, v48, v52
	v_fmac_f32_e32 v61, 0xbf737871, v7
	v_add_f32_e32 v9, v71, v9
	v_mov_b32_e32 v71, v30
	v_fmac_f32_e32 v61, 0xbf167918, v63
	v_fmac_f32_e32 v71, 0xbf737871, v8
	v_fmac_f32_e32 v30, 0x3f737871, v8
	v_fmac_f32_e32 v61, 0x3e9e377a, v5
	v_add_f32_e32 v5, v58, v40
	v_fmac_f32_e32 v71, 0x3f167918, v6
	v_fmac_f32_e32 v30, 0xbf167918, v6
	v_fmac_f32_e32 v54, -0.5, v5
	v_sub_f32_e32 v5, v50, v40
	v_sub_f32_e32 v6, v56, v58
	v_add_f32_e32 v5, v6, v5
	v_mov_b32_e32 v6, v54
	v_fmac_f32_e32 v6, 0xbf737871, v63
	v_fmac_f32_e32 v54, 0x3f737871, v63
	;; [unrolled: 1-line block ×6, first 2 shown]
	v_add_f32_e32 v5, v57, v51
	v_fma_f32 v83, -0.5, v5, v55
	v_add_f32_e32 v5, v59, v41
	v_add_f32_e32 v84, v41, v55
	v_fmac_f32_e32 v55, -0.5, v5
	v_sub_f32_e32 v85, v50, v56
	v_mov_b32_e32 v86, v55
	v_sub_f32_e32 v5, v51, v41
	v_sub_f32_e32 v7, v57, v59
	v_fmac_f32_e32 v86, 0x3f737871, v85
	v_sub_f32_e32 v87, v40, v58
	v_fmac_f32_e32 v55, 0xbf737871, v85
	v_add_f32_e32 v5, v7, v5
	v_fmac_f32_e32 v86, 0xbf167918, v87
	v_fmac_f32_e32 v55, 0x3f167918, v87
	;; [unrolled: 1-line block ×4, first 2 shown]
	v_add_f32_e32 v5, v46, v14
	v_fmac_f32_e32 v38, -0.5, v5
	v_sub_f32_e32 v5, v36, v14
	v_sub_f32_e32 v7, v42, v46
	v_add_f32_e32 v5, v7, v5
	v_mov_b32_e32 v7, v38
	v_fmac_f32_e32 v7, 0xbf737871, v67
	v_fmac_f32_e32 v38, 0x3f737871, v67
	;; [unrolled: 1-line block ×6, first 2 shown]
	v_add_f32_e32 v5, v32, v16
	v_fmac_f32_e32 v10, -0.5, v5
	v_sub_f32_e32 v5, v26, v16
	v_sub_f32_e32 v8, v28, v32
	v_add_f32_e32 v5, v8, v5
	v_mov_b32_e32 v8, v10
	v_fmac_f32_e32 v8, 0xbf737871, v72
	v_fmac_f32_e32 v10, 0x3f737871, v72
	;; [unrolled: 1-line block ×6, first 2 shown]
	v_add_f32_e32 v5, v24, v18
	v_fmac_f32_e32 v71, 0x3e9e377a, v9
	v_fmac_f32_e32 v30, 0x3e9e377a, v9
	v_fmac_f32_e32 v12, -0.5, v5
	v_sub_f32_e32 v5, v20, v18
	v_sub_f32_e32 v9, v22, v24
	v_add_f32_e32 v5, v9, v5
	v_mov_b32_e32 v9, v12
	v_fmac_f32_e32 v9, 0xbf737871, v77
	v_fmac_f32_e32 v12, 0x3f737871, v77
	;; [unrolled: 1-line block ×12, first 2 shown]
	ds_write2_b32 v76, v71, v30 offset0:2 offset1:3
	ds_write_b32 v76, v0 offset:16
	v_add_u32_e32 v30, 0x9cc, v76
	v_add_u32_e32 v88, 0x1390, v76
	;; [unrolled: 1-line block ×4, first 2 shown]
	v_lshlrev_b32_e32 v0, 4, v70
	v_fmac_f32_e32 v64, 0x3e9e377a, v60
	v_fmac_f32_e32 v68, 0x3e9e377a, v62
	;; [unrolled: 1-line block ×3, first 2 shown]
	ds_write2_b32 v30, v6, v54 offset1:1
	ds_write_b32 v76, v61 offset:2516
	ds_write2_b32 v88, v7, v38 offset1:1
	ds_write_b32 v76, v64 offset:5016
	;; [unrolled: 2-line block ×4, first 2 shown]
	v_sub_u32_e32 v0, v76, v0
	s_load_dwordx2 s[2:3], s[2:3], 0x0
	s_waitcnt lgkmcnt(0)
	s_barrier
	v_add_u32_e32 v40, 0x600, v0
	v_add_u32_e32 v56, 0x1200, v0
	;; [unrolled: 1-line block ×11, first 2 shown]
	ds_read_b32 v118, v0 offset:12000
	ds_read2_b32 v[9:10], v0 offset1:125
	ds_read2_b32 v[5:6], v40 offset0:116 offset1:241
	ds_read2_b32 v[60:61], v56 offset0:98 offset1:223
	;; [unrolled: 1-line block ×11, first 2 shown]
	s_waitcnt lgkmcnt(0)
	s_barrier
	ds_write2_b32 v30, v86, v55 offset1:1
	v_add_f32_e32 v12, v43, v37
	v_add_f32_e32 v55, v47, v15
	v_fma_f32 v12, -0.5, v12, v39
	v_add_f32_e32 v30, v15, v39
	v_fmac_f32_e32 v39, -0.5, v55
	v_sub_f32_e32 v36, v36, v42
	v_mov_b32_e32 v42, v39
	v_sub_f32_e32 v55, v37, v15
	v_sub_f32_e32 v86, v43, v47
	v_fmac_f32_e32 v42, 0x3f737871, v36
	v_sub_f32_e32 v14, v14, v46
	v_fmac_f32_e32 v39, 0xbf737871, v36
	v_add_f32_e32 v55, v86, v55
	v_fmac_f32_e32 v42, 0xbf167918, v14
	v_fmac_f32_e32 v39, 0x3f167918, v14
	;; [unrolled: 1-line block ×4, first 2 shown]
	ds_write2_b32 v88, v42, v39 offset1:1
	v_add_f32_e32 v39, v49, v45
	v_add_f32_e32 v46, v53, v35
	v_fma_f32 v39, -0.5, v39, v31
	v_add_f32_e32 v42, v35, v31
	v_fmac_f32_e32 v31, -0.5, v46
	v_sub_f32_e32 v44, v44, v48
	v_mov_b32_e32 v48, v31
	v_sub_f32_e32 v46, v45, v35
	v_sub_f32_e32 v55, v49, v53
	v_fmac_f32_e32 v48, 0x3f737871, v44
	v_sub_f32_e32 v34, v34, v52
	v_fmac_f32_e32 v31, 0xbf737871, v44
	v_add_f32_e32 v46, v55, v46
	v_fmac_f32_e32 v48, 0xbf167918, v34
	v_fmac_f32_e32 v31, 0x3f167918, v34
	;; [unrolled: 1-line block ×4, first 2 shown]
	ds_write2_b32 v76, v48, v31 offset0:2 offset1:3
	v_sub_f32_e32 v31, v41, v51
	v_sub_f32_e32 v46, v59, v57
	v_add_f32_e32 v31, v46, v31
	v_mov_b32_e32 v46, v83
	v_add_f32_e32 v30, v37, v30
	v_add_f32_e32 v41, v51, v84
	v_fmac_f32_e32 v46, 0xbf737871, v87
	v_sub_f32_e32 v15, v15, v37
	v_add_f32_e32 v30, v43, v30
	v_sub_f32_e32 v37, v47, v43
	v_add_f32_e32 v43, v17, v11
	v_add_f32_e32 v41, v57, v41
	v_fmac_f32_e32 v46, 0xbf167918, v85
	v_add_f32_e32 v43, v27, v43
	v_add_f32_e32 v41, v59, v41
	v_fmac_f32_e32 v46, 0x3e9e377a, v31
	v_sub_f32_e32 v16, v16, v32
	v_add_f32_e32 v32, v29, v43
	ds_write2_b32 v79, v41, v46 offset1:1
	v_sub_f32_e32 v35, v35, v45
	v_add_f32_e32 v41, v45, v42
	v_add_f32_e32 v45, v29, v27
	v_sub_f32_e32 v26, v26, v28
	v_sub_f32_e32 v28, v17, v27
	;; [unrolled: 1-line block ×3, first 2 shown]
	v_add_f32_e32 v17, v33, v17
	v_sub_f32_e32 v43, v33, v29
	v_sub_f32_e32 v29, v29, v33
	v_add_f32_e32 v33, v33, v32
	v_add_f32_e32 v32, v19, v13
	;; [unrolled: 1-line block ×3, first 2 shown]
	v_sub_f32_e32 v42, v53, v49
	v_sub_f32_e32 v18, v18, v24
	v_add_f32_e32 v24, v23, v32
	v_add_f32_e32 v46, v23, v21
	v_sub_f32_e32 v20, v20, v22
	v_sub_f32_e32 v22, v19, v21
	;; [unrolled: 1-line block ×3, first 2 shown]
	v_add_f32_e32 v19, v25, v19
	v_sub_f32_e32 v32, v25, v23
	v_sub_f32_e32 v23, v23, v25
	v_add_f32_e32 v24, v25, v24
	v_add_f32_e32 v25, v42, v35
	v_mov_b32_e32 v35, v39
	v_fmac_f32_e32 v35, 0xbf737871, v34
	v_fmac_f32_e32 v39, 0x3f737871, v34
	;; [unrolled: 1-line block ×6, first 2 shown]
	v_mov_b32_e32 v25, v12
	v_fmac_f32_e32 v25, 0xbf737871, v14
	v_fmac_f32_e32 v12, 0x3f737871, v14
	v_add_f32_e32 v15, v37, v15
	v_fmac_f32_e32 v25, 0xbf167918, v36
	v_fmac_f32_e32 v12, 0x3f167918, v36
	;; [unrolled: 1-line block ×4, first 2 shown]
	v_fma_f32 v15, -0.5, v45, v11
	v_add_f32_e32 v14, v43, v28
	v_mov_b32_e32 v28, v15
	v_fmac_f32_e32 v11, -0.5, v17
	v_fmac_f32_e32 v28, 0xbf737871, v16
	v_fmac_f32_e32 v15, 0x3f737871, v16
	v_mov_b32_e32 v17, v11
	v_fmac_f32_e32 v28, 0xbf167918, v26
	v_fmac_f32_e32 v15, 0x3f167918, v26
	;; [unrolled: 1-line block ×6, first 2 shown]
	v_add_f32_e32 v14, v29, v27
	v_fmac_f32_e32 v17, 0xbf167918, v16
	v_fmac_f32_e32 v11, 0x3f167918, v16
	v_fma_f32 v16, -0.5, v46, v13
	v_fmac_f32_e32 v17, 0x3e9e377a, v14
	v_fmac_f32_e32 v11, 0x3e9e377a, v14
	v_add_f32_e32 v14, v32, v22
	v_mov_b32_e32 v22, v16
	v_fmac_f32_e32 v13, -0.5, v19
	v_fmac_f32_e32 v22, 0xbf737871, v18
	v_fmac_f32_e32 v16, 0x3f737871, v18
	v_mov_b32_e32 v19, v13
	v_add_f32_e32 v41, v49, v41
	v_fmac_f32_e32 v83, 0x3f737871, v87
	v_fmac_f32_e32 v22, 0xbf167918, v20
	v_fmac_f32_e32 v16, 0x3f167918, v20
	v_fmac_f32_e32 v19, 0x3f737871, v20
	v_fmac_f32_e32 v13, 0xbf737871, v20
	v_add_f32_e32 v41, v53, v41
	v_add_f32_e32 v30, v47, v30
	v_fmac_f32_e32 v83, 0x3f167918, v85
	v_fmac_f32_e32 v22, 0x3e9e377a, v14
	;; [unrolled: 1-line block ×3, first 2 shown]
	v_add_f32_e32 v14, v23, v21
	v_fmac_f32_e32 v19, 0xbf167918, v18
	v_fmac_f32_e32 v13, 0x3f167918, v18
	v_add_u32_e32 v32, 0x1f4, v70
	s_mov_b32 s0, 0xcccd
	ds_write2_b32 v76, v41, v35 offset1:1
	v_fmac_f32_e32 v83, 0x3e9e377a, v31
	v_fmac_f32_e32 v19, 0x3e9e377a, v14
	;; [unrolled: 1-line block ×3, first 2 shown]
	ds_write_b32 v76, v39 offset:16
	ds_write_b32 v76, v83 offset:2516
	ds_write2_b32 v80, v30, v25 offset1:1
	ds_write_b32 v76, v12 offset:5016
	ds_write2_b32 v81, v33, v28 offset1:1
	ds_write2_b32 v89, v17, v11 offset1:1
	ds_write_b32 v76, v15 offset:7516
	ds_write2_b32 v82, v24, v22 offset1:1
	ds_write2_b32 v90, v19, v13 offset1:1
	ds_write_b32 v76, v16 offset:10016
	v_mul_u32_u24_sdwa v11, v32, s0 dst_sel:DWORD dst_unused:UNUSED_PAD src0_sel:WORD_0 src1_sel:DWORD
	v_lshrrev_b32_e32 v13, 18, v11
	v_mul_lo_u16_e32 v11, 5, v13
	v_sub_u16_e32 v14, v32, v11
	v_lshlrev_b32_e32 v11, 5, v14
	s_waitcnt lgkmcnt(0)
	s_barrier
	global_load_dwordx4 v[21:24], v11, s[12:13] offset:16
	v_add_u32_e32 v44, 0x177, v70
	v_mul_u32_u24_sdwa v12, v44, s0 dst_sel:DWORD dst_unused:UNUSED_PAD src0_sel:WORD_0 src1_sel:DWORD
	v_add_u32_e32 v43, 0xfa, v70
	v_lshrrev_b32_e32 v15, 18, v12
	v_mul_u32_u24_sdwa v17, v43, s0 dst_sel:DWORD dst_unused:UNUSED_PAD src0_sel:WORD_0 src1_sel:DWORD
	v_mul_lo_u16_e32 v12, 5, v15
	v_lshrrev_b32_e32 v17, 18, v17
	v_sub_u16_e32 v16, v44, v12
	v_mul_lo_u16_e32 v18, 5, v17
	v_lshlrev_b32_e32 v12, 5, v16
	global_load_dwordx4 v[45:48], v12, s[12:13] offset:16
	v_sub_u16_e32 v18, v43, v18
	v_lshlrev_b32_e32 v26, 5, v18
	s_movk_i32 s0, 0xcd
	v_add_u32_e32 v51, 0x7d, v70
	global_load_dwordx4 v[80:83], v26, s[12:13] offset:16
	v_mul_lo_u16_sdwa v19, v51, s0 dst_sel:DWORD dst_unused:UNUSED_PAD src0_sel:BYTE_0 src1_sel:DWORD
	v_lshrrev_b16_e32 v19, 10, v19
	v_mul_lo_u16_e32 v20, 5, v19
	v_sub_u16_e32 v20, v51, v20
	v_mov_b32_e32 v25, 5
	v_lshlrev_b32_sdwa v27, v25, v20 dst_sel:DWORD dst_unused:UNUSED_PAD src0_sel:DWORD src1_sel:BYTE_0
	global_load_dwordx4 v[84:87], v27, s[12:13] offset:16
	v_mul_lo_u16_sdwa v28, v70, s0 dst_sel:DWORD dst_unused:UNUSED_PAD src0_sel:BYTE_0 src1_sel:DWORD
	v_lshrrev_b16_e32 v79, 10, v28
	v_mul_lo_u16_e32 v28, 5, v79
	v_sub_u16_e32 v119, v70, v28
	v_lshlrev_b32_sdwa v29, v25, v119 dst_sel:DWORD dst_unused:UNUSED_PAD src0_sel:DWORD src1_sel:BYTE_0
	global_load_dwordx4 v[88:91], v29, s[12:13] offset:16
	global_load_dwordx4 v[92:95], v11, s[12:13]
	global_load_dwordx4 v[96:99], v12, s[12:13]
	;; [unrolled: 1-line block ×4, first 2 shown]
	ds_read2_b32 v[11:12], v74 offset0:74 offset1:199
	ds_read_b32 v30, v0 offset:12000
	global_load_dwordx4 v[108:111], v29, s[12:13]
	v_mul_u32_u24_e32 v79, 0x64, v79
	v_mul_u32_u24_e32 v19, 0x64, v19
	s_movk_i32 s0, 0x47af
	s_movk_i32 s4, 0x2000
	s_waitcnt vmcnt(9) lgkmcnt(1)
	v_mul_f32_e32 v26, v12, v22
	v_fma_f32 v28, v117, v21, -v26
	v_mul_f32_e32 v26, v117, v22
	v_fmac_f32_e32 v26, v12, v21
	ds_read2_b32 v[21:22], v71 offset0:62 offset1:187
	v_mul_f32_e32 v27, v118, v24
	s_waitcnt lgkmcnt(1)
	v_mul_f32_e32 v12, v30, v24
	v_fmac_f32_e32 v27, v30, v23
	v_fma_f32 v29, v118, v23, -v12
	s_waitcnt vmcnt(8)
	v_mul_f32_e32 v30, v116, v46
	v_mul_f32_e32 v31, v115, v48
	;; [unrolled: 1-line block ×3, first 2 shown]
	v_fmac_f32_e32 v30, v11, v45
	s_waitcnt lgkmcnt(0)
	v_mul_f32_e32 v11, v22, v48
	v_fmac_f32_e32 v31, v22, v47
	s_waitcnt vmcnt(7)
	v_mul_f32_e32 v22, v21, v83
	v_fma_f32 v35, v116, v45, -v12
	v_fma_f32 v36, v115, v47, -v11
	ds_read2_b32 v[11:12], v50 offset0:80 offset1:205
	v_fma_f32 v47, v114, v82, -v22
	ds_read2_b32 v[22:23], v54 offset0:68 offset1:193
	v_mul_f32_e32 v41, v114, v83
	v_mul_f32_e32 v42, v78, v81
	s_waitcnt vmcnt(6)
	v_mul_f32_e32 v53, v77, v85
	v_fmac_f32_e32 v41, v21, v82
	s_waitcnt lgkmcnt(1)
	v_mul_f32_e32 v21, v12, v81
	v_fmac_f32_e32 v42, v12, v80
	v_mul_f32_e32 v12, v11, v85
	v_fmac_f32_e32 v53, v11, v84
	s_waitcnt lgkmcnt(0)
	v_mul_f32_e32 v11, v23, v87
	v_fma_f32 v76, v77, v84, -v12
	v_fma_f32 v77, v113, v86, -v11
	ds_read2_b32 v[11:12], v73 offset0:86 offset1:211
	v_mul_f32_e32 v55, v113, v87
	v_fmac_f32_e32 v55, v23, v86
	ds_read2_b32 v[23:24], v75 offset0:104 offset1:229
	v_fma_f32 v48, v78, v80, -v21
	s_waitcnt vmcnt(5)
	v_mul_f32_e32 v78, v112, v91
	v_mul_f32_e32 v21, v22, v91
	v_fmac_f32_e32 v78, v22, v90
	s_waitcnt lgkmcnt(1)
	v_mul_f32_e32 v22, v12, v89
	v_fma_f32 v22, v69, v88, -v22
	v_mul_f32_e32 v69, v69, v89
	s_waitcnt vmcnt(4)
	v_mul_f32_e32 v33, v68, v95
	v_fmac_f32_e32 v69, v12, v88
	v_mul_f32_e32 v12, v11, v95
	v_fmac_f32_e32 v33, v11, v94
	s_waitcnt lgkmcnt(0)
	v_mul_f32_e32 v11, v24, v93
	v_fma_f32 v37, v68, v94, -v12
	v_fma_f32 v39, v67, v92, -v11
	ds_read2_b32 v[11:12], v72 offset0:92 offset1:217
	v_mul_f32_e32 v34, v67, v93
	s_waitcnt vmcnt(3)
	v_mul_f32_e32 v45, v66, v97
	v_fmac_f32_e32 v34, v24, v92
	v_mul_f32_e32 v24, v23, v97
	v_fmac_f32_e32 v45, v23, v96
	s_waitcnt lgkmcnt(0)
	v_mul_f32_e32 v23, v12, v99
	v_fma_f32 v49, v66, v96, -v24
	v_fma_f32 v52, v65, v98, -v23
	ds_read2_b32 v[23:24], v58 offset0:110 offset1:235
	ds_read2_b32 v[67:68], v56 offset0:98 offset1:223
	v_mul_f32_e32 v46, v65, v99
	s_waitcnt vmcnt(2)
	v_mul_f32_e32 v57, v64, v103
	v_fmac_f32_e32 v46, v12, v98
	v_mul_f32_e32 v12, v11, v103
	v_fmac_f32_e32 v57, v11, v102
	s_waitcnt lgkmcnt(1)
	v_mul_f32_e32 v11, v24, v101
	v_fma_f32 v65, v64, v102, -v12
	v_fma_f32 v64, v63, v100, -v11
	s_waitcnt vmcnt(1)
	v_mul_f32_e32 v11, v23, v105
	v_mul_f32_e32 v59, v63, v101
	v_fma_f32 v63, v62, v104, -v11
	s_waitcnt lgkmcnt(0)
	v_mul_f32_e32 v11, v68, v107
	v_fma_f32 v66, v61, v106, -v11
	ds_read2_b32 v[11:12], v40 offset0:116 offset1:241
	v_mul_f32_e32 v62, v62, v105
	v_fmac_f32_e32 v62, v23, v104
	s_waitcnt vmcnt(0)
	v_mul_f32_e32 v23, v67, v111
	v_fmac_f32_e32 v59, v24, v100
	v_mul_f32_e32 v61, v61, v107
	v_fma_f32 v23, v60, v110, -v23
	v_mul_f32_e32 v60, v60, v111
	s_waitcnt lgkmcnt(0)
	v_mul_f32_e32 v24, v12, v109
	v_fma_f32 v21, v112, v90, -v21
	v_fmac_f32_e32 v61, v68, v106
	v_fmac_f32_e32 v60, v67, v110
	v_fma_f32 v68, v6, v108, -v24
	v_mul_f32_e32 v67, v6, v109
	v_fmac_f32_e32 v67, v12, v108
	v_sub_f32_e32 v6, v68, v23
	v_sub_f32_e32 v12, v21, v22
	v_mov_b32_e32 v24, 2
	v_add_f32_e32 v6, v6, v12
	v_lshlrev_b32_sdwa v12, v24, v119 dst_sel:DWORD dst_unused:UNUSED_PAD src0_sel:DWORD src1_sel:BYTE_0
	v_add3_u32 v83, 0, v79, v12
	v_add_f32_e32 v79, v23, v22
	v_fma_f32 v84, -0.5, v79, v9
	v_add_f32_e32 v12, v9, v68
	v_sub_f32_e32 v85, v67, v78
	v_mov_b32_e32 v86, v84
	v_add_f32_e32 v12, v12, v23
	v_fmac_f32_e32 v86, 0x3f737871, v85
	v_sub_f32_e32 v87, v60, v69
	v_add_f32_e32 v12, v12, v22
	v_fmac_f32_e32 v86, 0x3f167918, v87
	v_add_f32_e32 v12, v12, v21
	v_fmac_f32_e32 v86, 0x3e9e377a, v6
	ds_read2_b32 v[79:80], v0 offset1:125
	ds_read2_b32 v[81:82], v38 offset0:122 offset1:247
	s_waitcnt lgkmcnt(0)
	s_barrier
	ds_write2_b32 v83, v12, v86 offset1:5
	v_sub_f32_e32 v12, v23, v68
	v_sub_f32_e32 v86, v22, v21
	v_add_f32_e32 v12, v12, v86
	v_add_f32_e32 v86, v68, v21
	v_fma_f32 v9, -0.5, v86, v9
	v_mov_b32_e32 v86, v9
	v_fmac_f32_e32 v86, 0xbf737871, v87
	v_fmac_f32_e32 v9, 0x3f737871, v87
	;; [unrolled: 1-line block ×9, first 2 shown]
	v_add_f32_e32 v6, v66, v76
	v_add_f32_e32 v12, v63, v77
	ds_write2_b32 v83, v86, v9 offset0:10 offset1:15
	v_fma_f32 v6, -0.5, v6, v10
	v_add_f32_e32 v9, v10, v63
	v_fmac_f32_e32 v10, -0.5, v12
	v_sub_f32_e32 v12, v66, v63
	v_sub_f32_e32 v85, v76, v77
	v_add_f32_e32 v12, v12, v85
	v_sub_f32_e32 v85, v61, v53
	v_mov_b32_e32 v86, v10
	v_fmac_f32_e32 v86, 0xbf737871, v85
	v_sub_f32_e32 v87, v62, v55
	v_fmac_f32_e32 v10, 0x3f737871, v85
	v_fmac_f32_e32 v86, 0x3f167918, v87
	;; [unrolled: 1-line block ×5, first 2 shown]
	v_lshlrev_b32_sdwa v12, v24, v20 dst_sel:DWORD dst_unused:UNUSED_PAD src0_sel:DWORD src1_sel:BYTE_0
	ds_write_b32 v83, v84 offset:80
	v_add3_u32 v84, 0, v19, v12
	ds_write2_b32 v84, v86, v10 offset0:10 offset1:15
	v_sub_f32_e32 v10, v63, v66
	v_sub_f32_e32 v12, v77, v76
	v_add_f32_e32 v10, v10, v12
	v_mov_b32_e32 v12, v6
	v_add_f32_e32 v9, v9, v66
	v_fmac_f32_e32 v12, 0x3f737871, v87
	v_add_f32_e32 v9, v9, v76
	v_fmac_f32_e32 v12, 0x3f167918, v85
	v_fmac_f32_e32 v6, 0xbf737871, v87
	v_add_f32_e32 v9, v9, v77
	v_fmac_f32_e32 v12, 0x3e9e377a, v10
	v_fmac_f32_e32 v6, 0xbf167918, v85
	ds_write2_b32 v84, v9, v12 offset1:5
	v_fmac_f32_e32 v6, 0x3e9e377a, v10
	v_sub_f32_e32 v9, v64, v65
	v_sub_f32_e32 v10, v47, v48
	v_add_f32_e32 v9, v9, v10
	ds_write_b32 v84, v6 offset:80
	v_lshlrev_b32_e32 v6, 2, v18
	v_mul_u32_u24_e32 v10, 0x64, v17
	v_add3_u32 v85, 0, v10, v6
	v_add_f32_e32 v10, v65, v48
	v_fma_f32 v10, -0.5, v10, v7
	v_add_f32_e32 v6, v7, v64
	v_sub_f32_e32 v12, v59, v41
	v_mov_b32_e32 v17, v10
	v_add_f32_e32 v6, v6, v65
	v_fmac_f32_e32 v17, 0x3f737871, v12
	v_sub_f32_e32 v18, v57, v42
	v_add_f32_e32 v6, v6, v48
	v_fmac_f32_e32 v17, 0x3f167918, v18
	v_add_f32_e32 v6, v6, v47
	v_fmac_f32_e32 v17, 0x3e9e377a, v9
	ds_write2_b32 v85, v6, v17 offset1:5
	v_sub_f32_e32 v6, v65, v64
	v_sub_f32_e32 v17, v48, v47
	v_add_f32_e32 v6, v6, v17
	v_add_f32_e32 v17, v64, v47
	v_fma_f32 v7, -0.5, v17, v7
	v_mov_b32_e32 v17, v7
	v_fmac_f32_e32 v17, 0xbf737871, v18
	v_fmac_f32_e32 v7, 0x3f737871, v18
	;; [unrolled: 1-line block ×9, first 2 shown]
	v_add_f32_e32 v6, v52, v35
	v_add_f32_e32 v9, v49, v36
	ds_write2_b32 v85, v17, v7 offset0:10 offset1:15
	v_fma_f32 v6, -0.5, v6, v8
	v_add_f32_e32 v7, v8, v49
	v_fmac_f32_e32 v8, -0.5, v9
	v_sub_f32_e32 v9, v52, v49
	v_sub_f32_e32 v12, v35, v36
	v_add_f32_e32 v9, v9, v12
	v_sub_f32_e32 v12, v46, v30
	v_mov_b32_e32 v17, v8
	v_fmac_f32_e32 v17, 0xbf737871, v12
	v_sub_f32_e32 v18, v45, v31
	v_fmac_f32_e32 v8, 0x3f737871, v12
	v_fmac_f32_e32 v17, 0x3f167918, v18
	;; [unrolled: 1-line block ×5, first 2 shown]
	ds_write_b32 v85, v10 offset:80
	v_lshlrev_b32_e32 v9, 2, v16
	v_mul_u32_u24_e32 v10, 0x64, v15
	v_add3_u32 v86, 0, v10, v9
	ds_write2_b32 v86, v17, v8 offset0:10 offset1:15
	v_sub_f32_e32 v8, v49, v52
	v_sub_f32_e32 v9, v36, v35
	v_add_f32_e32 v8, v8, v9
	v_mov_b32_e32 v9, v6
	v_add_f32_e32 v7, v7, v52
	v_fmac_f32_e32 v9, 0x3f737871, v18
	v_add_f32_e32 v7, v7, v35
	v_fmac_f32_e32 v9, 0x3f167918, v12
	;; [unrolled: 2-line block ×3, first 2 shown]
	v_fmac_f32_e32 v6, 0xbf737871, v18
	ds_write2_b32 v86, v7, v9 offset1:5
	v_fmac_f32_e32 v6, 0xbf167918, v12
	v_add_f32_e32 v7, v37, v28
	v_add_f32_e32 v9, v39, v29
	v_fmac_f32_e32 v6, 0x3e9e377a, v8
	v_fma_f32 v7, -0.5, v7, v5
	v_add_f32_e32 v8, v5, v39
	v_fmac_f32_e32 v5, -0.5, v9
	v_sub_f32_e32 v9, v37, v39
	v_sub_f32_e32 v10, v28, v29
	v_add_f32_e32 v9, v9, v10
	v_sub_f32_e32 v10, v33, v26
	v_mov_b32_e32 v12, v5
	v_fmac_f32_e32 v12, 0xbf737871, v10
	v_sub_f32_e32 v15, v34, v27
	v_fmac_f32_e32 v5, 0x3f737871, v10
	v_fmac_f32_e32 v12, 0x3f167918, v15
	v_fmac_f32_e32 v5, 0xbf167918, v15
	v_fmac_f32_e32 v12, 0x3e9e377a, v9
	v_fmac_f32_e32 v5, 0x3e9e377a, v9
	ds_write_b32 v86, v6 offset:80
	v_lshlrev_b32_e32 v6, 2, v14
	v_mul_u32_u24_e32 v9, 0x64, v13
	v_add3_u32 v87, 0, v9, v6
	ds_write2_b32 v87, v12, v5 offset0:10 offset1:15
	v_sub_f32_e32 v5, v39, v37
	v_sub_f32_e32 v6, v29, v28
	v_add_f32_e32 v5, v5, v6
	v_add_f32_e32 v6, v8, v37
	v_mov_b32_e32 v8, v7
	v_fmac_f32_e32 v8, 0x3f737871, v15
	v_fmac_f32_e32 v7, 0xbf737871, v15
	;; [unrolled: 1-line block ×6, first 2 shown]
	v_add_f32_e32 v5, v79, v67
	v_add_f32_e32 v6, v6, v28
	;; [unrolled: 1-line block ×5, first 2 shown]
	ds_write2_b32 v87, v6, v8 offset1:5
	v_sub_f32_e32 v6, v67, v60
	v_add_f32_e32 v90, v5, v78
	v_add_f32_e32 v5, v60, v69
	v_sub_f32_e32 v60, v60, v67
	v_add_f32_e32 v67, v67, v78
	v_sub_f32_e32 v8, v78, v69
	v_sub_f32_e32 v69, v69, v78
	v_fma_f32 v67, -0.5, v67, v79
	v_sub_f32_e32 v88, v23, v22
	v_add_f32_e32 v60, v60, v69
	v_mov_b32_e32 v69, v67
	v_sub_f32_e32 v68, v68, v21
	v_fmac_f32_e32 v69, 0x3f737871, v88
	v_fmac_f32_e32 v67, 0xbf737871, v88
	v_fmac_f32_e32 v69, 0xbf167918, v68
	v_fmac_f32_e32 v67, 0x3f167918, v68
	v_fma_f32 v91, -0.5, v5, v79
	v_fmac_f32_e32 v69, 0x3e9e377a, v60
	v_fmac_f32_e32 v67, 0x3e9e377a, v60
	v_add_f32_e32 v89, v6, v8
	ds_write_b32 v87, v7 offset:80
	v_mov_b32_e32 v92, v91
	s_waitcnt lgkmcnt(0)
	s_barrier
	ds_read_b32 v115, v0 offset:12000
	ds_read2_b32 v[9:10], v0 offset1:125
	ds_read2_b32 v[5:6], v40 offset0:116 offset1:241
	ds_read2_b32 v[12:13], v56 offset0:98 offset1:223
	;; [unrolled: 1-line block ×11, first 2 shown]
	s_waitcnt lgkmcnt(0)
	s_barrier
	ds_write2_b32 v83, v69, v67 offset0:10 offset1:15
	v_add_f32_e32 v67, v80, v62
	v_fmac_f32_e32 v92, 0xbf737871, v68
	v_fmac_f32_e32 v91, 0x3f737871, v68
	v_sub_f32_e32 v60, v63, v77
	v_sub_f32_e32 v63, v66, v76
	v_add_f32_e32 v66, v61, v53
	v_add_f32_e32 v68, v62, v55
	;; [unrolled: 1-line block ×3, first 2 shown]
	v_fma_f32 v66, -0.5, v66, v80
	v_fmac_f32_e32 v80, -0.5, v68
	v_sub_f32_e32 v68, v61, v62
	v_sub_f32_e32 v61, v62, v61
	v_add_f32_e32 v62, v67, v53
	v_sub_f32_e32 v69, v53, v55
	v_add_f32_e32 v62, v62, v55
	v_sub_f32_e32 v53, v55, v53
	v_mov_b32_e32 v55, v66
	v_add_f32_e32 v68, v68, v69
	v_mov_b32_e32 v69, v80
	v_fmac_f32_e32 v55, 0xbf737871, v60
	v_fmac_f32_e32 v92, 0xbf167918, v88
	;; [unrolled: 1-line block ×5, first 2 shown]
	v_add_f32_e32 v53, v61, v53
	v_fmac_f32_e32 v55, 0xbf167918, v63
	v_fmac_f32_e32 v66, 0x3f737871, v60
	;; [unrolled: 1-line block ×8, first 2 shown]
	v_add_f32_e32 v60, v57, v42
	ds_write2_b32 v83, v90, v92 offset1:5
	ds_write_b32 v83, v91 offset:80
	ds_write2_b32 v84, v62, v55 offset1:5
	v_fmac_f32_e32 v66, 0x3e9e377a, v53
	v_sub_f32_e32 v53, v59, v57
	v_sub_f32_e32 v55, v41, v42
	v_fma_f32 v60, -0.5, v60, v81
	v_sub_f32_e32 v47, v64, v47
	v_add_f32_e32 v53, v53, v55
	v_add_f32_e32 v55, v81, v59
	v_mov_b32_e32 v61, v60
	v_sub_f32_e32 v48, v65, v48
	v_add_f32_e32 v55, v55, v57
	v_fmac_f32_e32 v61, 0xbf737871, v47
	v_add_f32_e32 v55, v55, v42
	v_fmac_f32_e32 v61, 0xbf167918, v48
	v_fmac_f32_e32 v69, 0x3e9e377a, v68
	;; [unrolled: 1-line block ×3, first 2 shown]
	v_add_f32_e32 v55, v55, v41
	v_fmac_f32_e32 v61, 0x3e9e377a, v53
	ds_write2_b32 v84, v69, v80 offset0:10 offset1:15
	ds_write_b32 v84, v66 offset:80
	ds_write2_b32 v85, v55, v61 offset1:5
	v_sub_f32_e32 v55, v57, v59
	v_add_f32_e32 v57, v59, v41
	v_sub_f32_e32 v41, v42, v41
	v_fma_f32 v42, -0.5, v57, v81
	v_add_f32_e32 v41, v55, v41
	v_mov_b32_e32 v55, v42
	v_fmac_f32_e32 v55, 0x3f737871, v48
	v_fmac_f32_e32 v42, 0xbf737871, v48
	;; [unrolled: 1-line block ×6, first 2 shown]
	ds_write2_b32 v85, v55, v42 offset0:10 offset1:15
	v_sub_f32_e32 v41, v45, v46
	v_sub_f32_e32 v42, v31, v30
	v_add_f32_e32 v41, v41, v42
	v_add_f32_e32 v42, v46, v30
	v_fma_f32 v42, -0.5, v42, v82
	v_fmac_f32_e32 v60, 0x3f737871, v47
	v_sub_f32_e32 v36, v49, v36
	v_mov_b32_e32 v47, v42
	v_sub_f32_e32 v35, v52, v35
	v_fmac_f32_e32 v47, 0xbf737871, v36
	v_fmac_f32_e32 v42, 0x3f737871, v36
	;; [unrolled: 1-line block ×6, first 2 shown]
	v_add_f32_e32 v41, v82, v45
	v_fmac_f32_e32 v60, 0x3f167918, v48
	v_add_f32_e32 v48, v45, v31
	v_add_f32_e32 v41, v41, v46
	v_fmac_f32_e32 v82, -0.5, v48
	v_add_f32_e32 v41, v41, v30
	v_add_f32_e32 v41, v41, v31
	v_sub_f32_e32 v30, v30, v31
	v_mov_b32_e32 v31, v82
	v_sub_f32_e32 v45, v46, v45
	v_fmac_f32_e32 v31, 0x3f737871, v35
	v_fmac_f32_e32 v82, 0xbf737871, v35
	v_add_f32_e32 v30, v45, v30
	v_fmac_f32_e32 v31, 0xbf167918, v36
	v_fmac_f32_e32 v82, 0x3f167918, v36
	;; [unrolled: 1-line block ×4, first 2 shown]
	v_sub_f32_e32 v30, v34, v33
	v_sub_f32_e32 v35, v27, v26
	v_add_f32_e32 v30, v30, v35
	v_add_f32_e32 v35, v33, v26
	v_fma_f32 v35, -0.5, v35, v11
	v_sub_f32_e32 v29, v39, v29
	v_mov_b32_e32 v36, v35
	v_sub_f32_e32 v28, v37, v28
	v_fmac_f32_e32 v36, 0xbf737871, v29
	v_fmac_f32_e32 v35, 0x3f737871, v29
	;; [unrolled: 1-line block ×6, first 2 shown]
	v_add_f32_e32 v30, v11, v34
	v_add_f32_e32 v37, v34, v27
	;; [unrolled: 1-line block ×3, first 2 shown]
	v_fmac_f32_e32 v11, -0.5, v37
	v_add_f32_e32 v30, v30, v26
	v_sub_f32_e32 v33, v33, v34
	v_add_f32_e32 v30, v30, v27
	v_sub_f32_e32 v26, v26, v27
	v_mov_b32_e32 v27, v11
	v_fmac_f32_e32 v11, 0xbf737871, v28
	v_add_f32_e32 v26, v33, v26
	v_fmac_f32_e32 v27, 0x3f737871, v28
	v_fmac_f32_e32 v11, 0x3f167918, v29
	;; [unrolled: 1-line block ×6, first 2 shown]
	ds_write_b32 v85, v60 offset:80
	ds_write2_b32 v86, v41, v47 offset1:5
	ds_write2_b32 v86, v31, v82 offset0:10 offset1:15
	ds_write_b32 v86, v42 offset:80
	ds_write2_b32 v87, v30, v36 offset1:5
	ds_write2_b32 v87, v27, v11 offset0:10 offset1:15
	ds_write_b32 v87, v35 offset:80
	v_mul_u32_u24_sdwa v11, v32, s0 dst_sel:DWORD dst_unused:UNUSED_PAD src0_sel:WORD_0 src1_sel:DWORD
	v_sub_u16_sdwa v26, v32, v11 dst_sel:DWORD dst_unused:UNUSED_PAD src0_sel:DWORD src1_sel:WORD_1
	v_lshrrev_b16_e32 v26, 1, v26
	v_add_u16_sdwa v11, v26, v11 dst_sel:DWORD dst_unused:UNUSED_PAD src0_sel:DWORD src1_sel:WORD_1
	v_lshrrev_b16_e32 v11, 4, v11
	v_mul_lo_u16_e32 v26, 25, v11
	v_sub_u16_e32 v30, v32, v26
	v_mul_u32_u24_sdwa v27, v44, s0 dst_sel:DWORD dst_unused:UNUSED_PAD src0_sel:WORD_0 src1_sel:DWORD
	v_lshlrev_b32_e32 v26, 5, v30
	v_sub_u16_sdwa v28, v44, v27 dst_sel:DWORD dst_unused:UNUSED_PAD src0_sel:DWORD src1_sel:WORD_1
	s_waitcnt lgkmcnt(0)
	s_barrier
	global_load_dwordx4 v[33:36], v26, s[12:13] offset:176
	v_lshrrev_b16_e32 v28, 1, v28
	v_add_u16_sdwa v27, v28, v27 dst_sel:DWORD dst_unused:UNUSED_PAD src0_sel:DWORD src1_sel:WORD_1
	v_lshrrev_b16_e32 v42, 4, v27
	v_mul_lo_u16_e32 v27, 25, v42
	v_sub_u16_e32 v49, v44, v27
	v_mul_u32_u24_sdwa v28, v43, s0 dst_sel:DWORD dst_unused:UNUSED_PAD src0_sel:WORD_0 src1_sel:DWORD
	v_lshlrev_b32_e32 v27, 5, v49
	global_load_dwordx4 v[45:48], v27, s[12:13] offset:176
	v_sub_u16_sdwa v29, v43, v28 dst_sel:DWORD dst_unused:UNUSED_PAD src0_sel:DWORD src1_sel:WORD_1
	v_lshrrev_b16_e32 v29, 1, v29
	v_add_u16_sdwa v28, v29, v28 dst_sel:DWORD dst_unused:UNUSED_PAD src0_sel:DWORD src1_sel:WORD_1
	v_lshrrev_b16_e32 v67, 4, v28
	v_mov_b32_e32 v29, 41
	v_mul_lo_u16_e32 v28, 25, v67
	v_mul_lo_u16_sdwa v31, v51, v29 dst_sel:DWORD dst_unused:UNUSED_PAD src0_sel:BYTE_0 src1_sel:DWORD
	v_sub_u16_e32 v68, v43, v28
	v_lshrrev_b16_e32 v82, 10, v31
	v_lshlrev_b32_e32 v28, 5, v68
	v_mul_lo_u16_e32 v31, 25, v82
	global_load_dwordx4 v[59:62], v28, s[12:13] offset:176
	v_sub_u16_e32 v83, v51, v31
	v_lshlrev_b32_sdwa v31, v25, v83 dst_sel:DWORD dst_unused:UNUSED_PAD src0_sel:DWORD src1_sel:BYTE_0
	global_load_dwordx4 v[76:79], v31, s[12:13] offset:176
	v_mul_lo_u16_sdwa v29, v70, v29 dst_sel:DWORD dst_unused:UNUSED_PAD src0_sel:BYTE_0 src1_sel:DWORD
	v_lshrrev_b16_e32 v84, 10, v29
	v_mul_lo_u16_e32 v29, 25, v84
	v_sub_u16_e32 v116, v70, v29
	v_lshlrev_b32_sdwa v25, v25, v116 dst_sel:DWORD dst_unused:UNUSED_PAD src0_sel:DWORD src1_sel:BYTE_0
	global_load_dwordx4 v[85:88], v25, s[12:13] offset:176
	global_load_dwordx4 v[89:92], v26, s[12:13] offset:160
	;; [unrolled: 1-line block ×5, first 2 shown]
	ds_read2_b32 v[52:53], v74 offset0:74 offset1:199
	ds_read_b32 v27, v0 offset:12000
	global_load_dwordx4 v[105:108], v25, s[12:13] offset:160
	s_movk_i32 s0, 0x625
	s_waitcnt vmcnt(9) lgkmcnt(1)
	v_mul_f32_e32 v26, v53, v34
	v_fma_f32 v28, v114, v33, -v26
	s_waitcnt lgkmcnt(0)
	v_mul_f32_e32 v25, v27, v36
	v_mul_f32_e32 v26, v115, v36
	v_fma_f32 v29, v115, v35, -v25
	v_fmac_f32_e32 v26, v27, v35
	v_mul_f32_e32 v27, v114, v34
	ds_read2_b32 v[34:35], v71 offset0:62 offset1:187
	s_waitcnt vmcnt(8)
	v_mul_f32_e32 v25, v52, v46
	v_fmac_f32_e32 v27, v53, v33
	v_fma_f32 v36, v113, v45, -v25
	v_mul_f32_e32 v33, v112, v48
	s_waitcnt lgkmcnt(0)
	v_mul_f32_e32 v25, v35, v48
	v_fma_f32 v37, v112, v47, -v25
	v_fmac_f32_e32 v33, v35, v47
	ds_read2_b32 v[47:48], v50 offset0:80 offset1:205
	v_mul_f32_e32 v31, v113, v46
	v_fmac_f32_e32 v31, v52, v45
	s_waitcnt vmcnt(7)
	v_mul_f32_e32 v25, v34, v62
	v_mul_f32_e32 v45, v111, v62
	v_fma_f32 v52, v111, v61, -v25
	v_fmac_f32_e32 v45, v34, v61
	s_waitcnt lgkmcnt(0)
	v_mul_f32_e32 v25, v48, v60
	v_mul_f32_e32 v46, v110, v60
	ds_read2_b32 v[34:35], v54 offset0:68 offset1:193
	v_fma_f32 v53, v110, v59, -v25
	v_fmac_f32_e32 v46, v48, v59
	s_waitcnt vmcnt(6)
	v_mul_f32_e32 v59, v109, v77
	v_mul_f32_e32 v25, v47, v77
	v_fmac_f32_e32 v59, v47, v76
	ds_read2_b32 v[47:48], v73 offset0:86 offset1:211
	ds_read2_b32 v[61:62], v75 offset0:104 offset1:229
	v_fma_f32 v63, v109, v76, -v25
	s_waitcnt lgkmcnt(2)
	v_mul_f32_e32 v25, v35, v79
	v_fma_f32 v65, v23, v78, -v25
	v_mul_f32_e32 v60, v23, v79
	s_waitcnt vmcnt(5)
	v_mul_f32_e32 v23, v34, v88
	v_fma_f32 v23, v22, v87, -v23
	v_mul_f32_e32 v69, v22, v88
	s_waitcnt lgkmcnt(1)
	v_mul_f32_e32 v22, v48, v86
	v_fma_f32 v22, v21, v85, -v22
	v_mul_f32_e32 v77, v21, v86
	s_waitcnt vmcnt(4)
	v_mul_f32_e32 v21, v47, v92
	v_fmac_f32_e32 v69, v34, v87
	v_fma_f32 v39, v20, v91, -v21
	v_mul_f32_e32 v34, v20, v92
	s_waitcnt lgkmcnt(0)
	v_mul_f32_e32 v20, v62, v90
	v_fmac_f32_e32 v60, v35, v78
	v_fma_f32 v41, v19, v89, -v20
	v_mul_f32_e32 v35, v19, v90
	ds_read2_b32 v[19:20], v72 offset0:92 offset1:217
	s_waitcnt vmcnt(3)
	v_mul_f32_e32 v21, v61, v94
	v_fmac_f32_e32 v34, v47, v91
	v_fma_f32 v55, v18, v93, -v21
	v_mul_f32_e32 v47, v18, v94
	s_waitcnt lgkmcnt(0)
	v_mul_f32_e32 v18, v20, v96
	v_fmac_f32_e32 v77, v48, v85
	v_fma_f32 v57, v17, v95, -v18
	v_mul_f32_e32 v48, v17, v96
	ds_read2_b32 v[17:18], v58 offset0:110 offset1:235
	v_fmac_f32_e32 v35, v62, v89
	v_fmac_f32_e32 v47, v61, v93
	;; [unrolled: 1-line block ×3, first 2 shown]
	s_waitcnt vmcnt(2)
	v_mul_f32_e32 v20, v19, v100
	v_mul_f32_e32 v61, v16, v100
	v_mul_f32_e32 v62, v15, v98
	v_fma_f32 v64, v16, v99, -v20
	v_fmac_f32_e32 v61, v19, v99
	s_waitcnt lgkmcnt(0)
	v_mul_f32_e32 v16, v18, v98
	v_fmac_f32_e32 v62, v18, v97
	ds_read2_b32 v[18:19], v56 offset0:98 offset1:223
	v_fma_f32 v66, v15, v97, -v16
	s_waitcnt vmcnt(1)
	v_mul_f32_e32 v15, v17, v102
	v_fma_f32 v79, v14, v101, -v15
	ds_read2_b32 v[15:16], v40 offset0:116 offset1:241
	v_mul_f32_e32 v76, v14, v102
	s_waitcnt lgkmcnt(1)
	v_mul_f32_e32 v14, v19, v104
	v_fma_f32 v80, v13, v103, -v14
	v_mul_f32_e32 v78, v13, v104
	s_waitcnt vmcnt(0)
	v_mul_f32_e32 v13, v18, v108
	v_fma_f32 v13, v12, v107, -v13
	v_mul_f32_e32 v81, v12, v108
	s_waitcnt lgkmcnt(0)
	v_mul_f32_e32 v12, v16, v106
	v_fma_f32 v12, v6, v105, -v12
	v_mul_f32_e32 v6, v6, v106
	v_fmac_f32_e32 v6, v16, v105
	v_sub_f32_e32 v14, v12, v13
	v_sub_f32_e32 v16, v23, v22
	v_fmac_f32_e32 v76, v17, v101
	v_add_f32_e32 v14, v14, v16
	v_lshlrev_b32_sdwa v16, v24, v116 dst_sel:DWORD dst_unused:UNUSED_PAD src0_sel:DWORD src1_sel:BYTE_0
	v_mul_u32_u24_e32 v17, 0x1f4, v84
	v_add3_u32 v88, 0, v17, v16
	v_add_f32_e32 v17, v13, v22
	v_fma_f32 v17, -0.5, v17, v9
	v_fmac_f32_e32 v78, v19, v103
	v_fmac_f32_e32 v81, v18, v107
	v_add_f32_e32 v16, v9, v12
	v_sub_f32_e32 v18, v6, v69
	v_mov_b32_e32 v19, v17
	v_add_f32_e32 v16, v16, v13
	v_fmac_f32_e32 v19, 0x3f737871, v18
	v_sub_f32_e32 v20, v81, v77
	v_add_f32_e32 v16, v16, v22
	v_fmac_f32_e32 v19, 0x3f167918, v20
	v_add_f32_e32 v16, v16, v23
	v_fmac_f32_e32 v19, 0x3e9e377a, v14
	ds_read2_b32 v[84:85], v0 offset1:125
	ds_read2_b32 v[86:87], v38 offset0:122 offset1:247
	s_waitcnt lgkmcnt(0)
	s_barrier
	ds_write2_b32 v88, v16, v19 offset1:25
	v_sub_f32_e32 v16, v13, v12
	v_sub_f32_e32 v19, v22, v23
	v_add_f32_e32 v16, v16, v19
	v_add_f32_e32 v19, v12, v23
	v_fma_f32 v9, -0.5, v19, v9
	v_mov_b32_e32 v19, v9
	v_fmac_f32_e32 v19, 0xbf737871, v20
	v_fmac_f32_e32 v9, 0x3f737871, v20
	;; [unrolled: 1-line block ×9, first 2 shown]
	v_add_f32_e32 v14, v80, v63
	v_add_f32_e32 v18, v79, v65
	ds_write2_b32 v88, v19, v9 offset0:50 offset1:75
	v_fma_f32 v14, -0.5, v14, v10
	v_add_f32_e32 v16, v10, v79
	v_fmac_f32_e32 v10, -0.5, v18
	v_sub_f32_e32 v18, v80, v79
	v_sub_f32_e32 v19, v63, v65
	v_add_f32_e32 v18, v18, v19
	v_sub_f32_e32 v19, v78, v59
	v_mov_b32_e32 v20, v10
	v_fmac_f32_e32 v20, 0xbf737871, v19
	v_sub_f32_e32 v21, v76, v60
	v_fmac_f32_e32 v10, 0x3f737871, v19
	v_lshlrev_b32_sdwa v9, v24, v83 dst_sel:DWORD dst_unused:UNUSED_PAD src0_sel:DWORD src1_sel:BYTE_0
	v_fmac_f32_e32 v20, 0x3f167918, v21
	v_fmac_f32_e32 v10, 0xbf167918, v21
	ds_write_b32 v88, v17 offset:400
	v_mul_u32_u24_e32 v17, 0x1f4, v82
	v_fmac_f32_e32 v20, 0x3e9e377a, v18
	v_fmac_f32_e32 v10, 0x3e9e377a, v18
	v_add3_u32 v89, 0, v17, v9
	ds_write2_b32 v89, v20, v10 offset0:50 offset1:75
	v_sub_f32_e32 v9, v79, v80
	v_sub_f32_e32 v10, v65, v63
	v_add_f32_e32 v9, v9, v10
	v_add_f32_e32 v10, v16, v80
	v_mov_b32_e32 v16, v14
	v_fmac_f32_e32 v16, 0x3f737871, v21
	v_add_f32_e32 v10, v10, v63
	v_fmac_f32_e32 v16, 0x3f167918, v19
	v_fmac_f32_e32 v14, 0xbf737871, v21
	v_add_f32_e32 v10, v10, v65
	v_fmac_f32_e32 v16, 0x3e9e377a, v9
	v_fmac_f32_e32 v14, 0xbf167918, v19
	ds_write2_b32 v89, v10, v16 offset1:25
	v_fmac_f32_e32 v14, 0x3e9e377a, v9
	v_sub_f32_e32 v9, v66, v64
	v_sub_f32_e32 v10, v52, v53
	v_add_f32_e32 v9, v9, v10
	ds_write_b32 v89, v14 offset:400
	v_lshlrev_b32_e32 v10, 2, v68
	v_mul_u32_u24_e32 v14, 0x1f4, v67
	v_add3_u32 v90, 0, v14, v10
	v_add_f32_e32 v14, v64, v53
	v_fma_f32 v14, -0.5, v14, v7
	v_add_f32_e32 v10, v7, v66
	v_sub_f32_e32 v16, v62, v45
	v_mov_b32_e32 v17, v14
	v_add_f32_e32 v10, v10, v64
	v_fmac_f32_e32 v17, 0x3f737871, v16
	v_sub_f32_e32 v18, v61, v46
	v_add_f32_e32 v10, v10, v53
	v_fmac_f32_e32 v17, 0x3f167918, v18
	v_add_f32_e32 v10, v10, v52
	v_fmac_f32_e32 v17, 0x3e9e377a, v9
	ds_write2_b32 v90, v10, v17 offset1:25
	v_sub_f32_e32 v10, v64, v66
	v_sub_f32_e32 v17, v53, v52
	v_add_f32_e32 v10, v10, v17
	v_add_f32_e32 v17, v66, v52
	v_fma_f32 v7, -0.5, v17, v7
	v_mov_b32_e32 v17, v7
	v_fmac_f32_e32 v17, 0xbf737871, v18
	v_fmac_f32_e32 v7, 0x3f737871, v18
	;; [unrolled: 1-line block ×7, first 2 shown]
	ds_write2_b32 v90, v17, v7 offset0:50 offset1:75
	v_fmac_f32_e32 v14, 0xbf167918, v18
	v_add_f32_e32 v7, v57, v36
	v_add_f32_e32 v10, v55, v37
	v_fmac_f32_e32 v14, 0x3e9e377a, v9
	v_fma_f32 v7, -0.5, v7, v8
	v_add_f32_e32 v9, v8, v55
	v_fmac_f32_e32 v8, -0.5, v10
	v_sub_f32_e32 v10, v57, v55
	v_sub_f32_e32 v16, v36, v37
	v_add_f32_e32 v10, v10, v16
	v_sub_f32_e32 v16, v48, v31
	v_mov_b32_e32 v17, v8
	v_fmac_f32_e32 v17, 0xbf737871, v16
	v_sub_f32_e32 v18, v47, v33
	v_fmac_f32_e32 v8, 0x3f737871, v16
	v_fmac_f32_e32 v17, 0x3f167918, v18
	;; [unrolled: 1-line block ×5, first 2 shown]
	ds_write_b32 v90, v14 offset:400
	v_lshlrev_b32_e32 v10, 2, v49
	v_mul_u32_u24_e32 v14, 0x1f4, v42
	v_add3_u32 v42, 0, v14, v10
	ds_write2_b32 v42, v17, v8 offset0:50 offset1:75
	v_sub_f32_e32 v8, v55, v57
	v_sub_f32_e32 v10, v37, v36
	v_add_f32_e32 v8, v8, v10
	v_mov_b32_e32 v10, v7
	v_add_f32_e32 v9, v9, v57
	v_fmac_f32_e32 v10, 0x3f737871, v18
	v_add_f32_e32 v9, v9, v36
	v_fmac_f32_e32 v10, 0x3f167918, v16
	v_fmac_f32_e32 v7, 0xbf737871, v18
	v_add_f32_e32 v9, v9, v37
	v_fmac_f32_e32 v10, 0x3e9e377a, v8
	v_fmac_f32_e32 v7, 0xbf167918, v16
	ds_write2_b32 v42, v9, v10 offset1:25
	v_fmac_f32_e32 v7, 0x3e9e377a, v8
	v_add_f32_e32 v8, v39, v28
	v_add_f32_e32 v10, v41, v29
	v_fma_f32 v8, -0.5, v8, v5
	v_add_f32_e32 v9, v5, v41
	v_fmac_f32_e32 v5, -0.5, v10
	v_sub_f32_e32 v10, v39, v41
	v_sub_f32_e32 v14, v28, v29
	v_add_f32_e32 v10, v10, v14
	v_sub_f32_e32 v14, v34, v27
	v_mov_b32_e32 v16, v5
	v_fmac_f32_e32 v16, 0xbf737871, v14
	v_sub_f32_e32 v17, v35, v26
	v_fmac_f32_e32 v5, 0x3f737871, v14
	v_fmac_f32_e32 v16, 0x3f167918, v17
	;; [unrolled: 1-line block ×5, first 2 shown]
	ds_write_b32 v42, v7 offset:400
	v_lshlrev_b32_e32 v7, 2, v30
	v_mul_u32_u24_e32 v10, 0x1f4, v11
	v_add3_u32 v7, 0, v10, v7
	ds_write2_b32 v7, v16, v5 offset0:50 offset1:75
	v_sub_f32_e32 v5, v41, v39
	v_sub_f32_e32 v10, v29, v28
	v_add_f32_e32 v5, v5, v10
	v_mov_b32_e32 v10, v8
	v_fmac_f32_e32 v8, 0xbf737871, v17
	v_fmac_f32_e32 v8, 0xbf167918, v14
	;; [unrolled: 1-line block ×3, first 2 shown]
	v_add_f32_e32 v9, v9, v39
	v_fmac_f32_e32 v10, 0x3f737871, v17
	ds_write_b32 v7, v8 offset:400
	v_add_f32_e32 v8, v81, v77
	v_add_f32_e32 v9, v9, v28
	v_fmac_f32_e32 v10, 0x3f167918, v14
	v_fma_f32 v8, -0.5, v8, v84
	v_add_f32_e32 v9, v9, v29
	v_fmac_f32_e32 v10, 0x3e9e377a, v5
	v_sub_f32_e32 v30, v12, v23
	v_add_f32_e32 v5, v84, v6
	v_mov_b32_e32 v92, v8
	ds_write2_b32 v7, v9, v10 offset1:25
	v_sub_f32_e32 v49, v13, v22
	v_sub_f32_e32 v9, v6, v81
	;; [unrolled: 1-line block ×3, first 2 shown]
	v_add_f32_e32 v5, v5, v81
	v_fmac_f32_e32 v92, 0xbf737871, v30
	v_add_f32_e32 v91, v9, v10
	v_add_f32_e32 v5, v5, v77
	v_fmac_f32_e32 v92, 0xbf167918, v49
	v_add_f32_e32 v5, v5, v69
	v_fmac_f32_e32 v92, 0x3e9e377a, v91
	s_waitcnt lgkmcnt(0)
	s_barrier
	ds_read_b32 v110, v0 offset:12000
	ds_read2_b32 v[13:14], v0 offset1:125
	ds_read2_b32 v[11:12], v40 offset0:116 offset1:241
	ds_read2_b32 v[16:17], v56 offset0:98 offset1:223
	;; [unrolled: 1-line block ×11, first 2 shown]
	s_waitcnt lgkmcnt(0)
	s_barrier
	ds_write2_b32 v88, v5, v92 offset1:25
	v_sub_f32_e32 v5, v81, v6
	v_add_f32_e32 v6, v6, v69
	v_sub_f32_e32 v69, v77, v69
	v_fma_f32 v6, -0.5, v6, v84
	v_add_f32_e32 v5, v5, v69
	v_mov_b32_e32 v69, v6
	v_fmac_f32_e32 v8, 0x3f737871, v30
	v_fmac_f32_e32 v69, 0x3f737871, v49
	v_fmac_f32_e32 v6, 0xbf737871, v49
	v_fmac_f32_e32 v8, 0x3f167918, v49
	v_fmac_f32_e32 v69, 0xbf167918, v30
	v_fmac_f32_e32 v6, 0x3f167918, v30
	v_fmac_f32_e32 v8, 0x3e9e377a, v91
	v_fmac_f32_e32 v69, 0x3e9e377a, v5
	v_fmac_f32_e32 v6, 0x3e9e377a, v5
	ds_write_b32 v88, v8 offset:400
	v_add_f32_e32 v8, v78, v59
	v_add_f32_e32 v49, v76, v60
	ds_write2_b32 v88, v69, v6 offset0:50 offset1:75
	v_sub_f32_e32 v6, v80, v63
	v_fma_f32 v8, -0.5, v8, v85
	v_add_f32_e32 v30, v85, v76
	v_fmac_f32_e32 v85, -0.5, v49
	v_sub_f32_e32 v49, v78, v76
	v_sub_f32_e32 v63, v59, v60
	v_add_f32_e32 v49, v49, v63
	v_mov_b32_e32 v63, v85
	v_sub_f32_e32 v5, v79, v65
	v_fmac_f32_e32 v63, 0x3f737871, v6
	v_fmac_f32_e32 v85, 0xbf737871, v6
	;; [unrolled: 1-line block ×4, first 2 shown]
	v_add_f32_e32 v30, v30, v78
	v_fmac_f32_e32 v63, 0x3e9e377a, v49
	v_fmac_f32_e32 v85, 0x3e9e377a, v49
	v_sub_f32_e32 v49, v76, v78
	v_add_f32_e32 v30, v30, v59
	v_sub_f32_e32 v59, v60, v59
	v_add_f32_e32 v49, v49, v59
	v_mov_b32_e32 v59, v8
	v_fmac_f32_e32 v59, 0xbf737871, v5
	v_fmac_f32_e32 v8, 0x3f737871, v5
	;; [unrolled: 1-line block ×4, first 2 shown]
	v_add_f32_e32 v30, v30, v60
	v_fmac_f32_e32 v59, 0x3e9e377a, v49
	v_fmac_f32_e32 v8, 0x3e9e377a, v49
	v_add_f32_e32 v49, v61, v46
	ds_write2_b32 v89, v30, v59 offset1:25
	ds_write_b32 v89, v8 offset:400
	v_sub_f32_e32 v8, v62, v61
	v_sub_f32_e32 v30, v45, v46
	v_fma_f32 v49, -0.5, v49, v86
	v_sub_f32_e32 v5, v66, v52
	v_add_f32_e32 v8, v8, v30
	v_add_f32_e32 v30, v86, v62
	v_mov_b32_e32 v52, v49
	v_sub_f32_e32 v6, v64, v53
	v_add_f32_e32 v30, v30, v61
	v_fmac_f32_e32 v52, 0xbf737871, v5
	v_add_f32_e32 v30, v30, v46
	v_fmac_f32_e32 v52, 0xbf167918, v6
	;; [unrolled: 2-line block ×3, first 2 shown]
	v_fmac_f32_e32 v49, 0x3f737871, v5
	ds_write2_b32 v89, v63, v85 offset0:50 offset1:75
	ds_write2_b32 v90, v30, v52 offset1:25
	v_fmac_f32_e32 v49, 0x3f167918, v6
	v_add_f32_e32 v30, v62, v45
	v_fmac_f32_e32 v49, 0x3e9e377a, v8
	v_sub_f32_e32 v8, v61, v62
	v_sub_f32_e32 v45, v46, v45
	v_fma_f32 v30, -0.5, v30, v86
	v_add_f32_e32 v8, v8, v45
	v_mov_b32_e32 v45, v30
	v_fmac_f32_e32 v45, 0x3f737871, v6
	v_fmac_f32_e32 v30, 0xbf737871, v6
	;; [unrolled: 1-line block ×6, first 2 shown]
	v_sub_f32_e32 v6, v57, v36
	v_sub_f32_e32 v8, v47, v48
	;; [unrolled: 1-line block ×3, first 2 shown]
	v_add_f32_e32 v8, v8, v36
	v_add_f32_e32 v36, v48, v31
	v_fma_f32 v36, -0.5, v36, v87
	v_sub_f32_e32 v5, v55, v37
	v_mov_b32_e32 v37, v36
	v_fmac_f32_e32 v37, 0xbf737871, v5
	v_fmac_f32_e32 v36, 0x3f737871, v5
	v_fmac_f32_e32 v37, 0xbf167918, v6
	v_fmac_f32_e32 v36, 0x3f167918, v6
	v_fmac_f32_e32 v37, 0x3e9e377a, v8
	v_fmac_f32_e32 v36, 0x3e9e377a, v8
	v_add_f32_e32 v8, v87, v47
	v_add_f32_e32 v46, v47, v33
	;; [unrolled: 1-line block ×3, first 2 shown]
	v_fmac_f32_e32 v87, -0.5, v46
	v_add_f32_e32 v8, v8, v31
	v_add_f32_e32 v8, v8, v33
	v_sub_f32_e32 v31, v31, v33
	v_mov_b32_e32 v33, v87
	v_fmac_f32_e32 v33, 0x3f737871, v6
	v_fmac_f32_e32 v87, 0xbf737871, v6
	;; [unrolled: 1-line block ×4, first 2 shown]
	v_sub_f32_e32 v5, v41, v29
	v_sub_f32_e32 v6, v39, v28
	v_sub_f32_e32 v28, v35, v34
	v_sub_f32_e32 v29, v26, v27
	v_sub_f32_e32 v46, v48, v47
	v_add_f32_e32 v28, v28, v29
	v_add_f32_e32 v29, v34, v27
	;; [unrolled: 1-line block ×3, first 2 shown]
	v_fma_f32 v29, -0.5, v29, v15
	v_fmac_f32_e32 v33, 0x3e9e377a, v31
	v_fmac_f32_e32 v87, 0x3e9e377a, v31
	v_mov_b32_e32 v31, v29
	v_fmac_f32_e32 v31, 0xbf737871, v5
	v_fmac_f32_e32 v29, 0x3f737871, v5
	;; [unrolled: 1-line block ×6, first 2 shown]
	v_add_f32_e32 v28, v15, v35
	v_add_f32_e32 v39, v35, v26
	;; [unrolled: 1-line block ×3, first 2 shown]
	v_fmac_f32_e32 v15, -0.5, v39
	v_add_f32_e32 v28, v28, v27
	v_add_f32_e32 v28, v28, v26
	v_sub_f32_e32 v26, v27, v26
	v_mov_b32_e32 v27, v15
	v_fmac_f32_e32 v27, 0x3f737871, v6
	v_fmac_f32_e32 v15, 0xbf737871, v6
	;; [unrolled: 1-line block ×4, first 2 shown]
	v_mul_u32_u24_sdwa v5, v32, s0 dst_sel:DWORD dst_unused:UNUSED_PAD src0_sel:WORD_0 src1_sel:DWORD
	v_sub_u16_sdwa v6, v32, v5 dst_sel:DWORD dst_unused:UNUSED_PAD src0_sel:DWORD src1_sel:WORD_1
	v_lshrrev_b16_e32 v6, 1, v6
	v_add_u16_sdwa v5, v6, v5 dst_sel:DWORD dst_unused:UNUSED_PAD src0_sel:DWORD src1_sel:WORD_1
	v_sub_f32_e32 v34, v34, v35
	v_lshrrev_b16_e32 v5, 6, v5
	v_add_f32_e32 v26, v34, v26
	v_mul_lo_u16_e32 v5, 0x7d, v5
	v_fmac_f32_e32 v27, 0x3e9e377a, v26
	v_fmac_f32_e32 v15, 0x3e9e377a, v26
	v_sub_u16_e32 v26, v32, v5
	ds_write2_b32 v90, v45, v30 offset0:50 offset1:75
	ds_write_b32 v90, v49 offset:400
	ds_write2_b32 v42, v8, v37 offset1:25
	ds_write2_b32 v42, v33, v87 offset0:50 offset1:75
	ds_write_b32 v42, v36 offset:400
	ds_write2_b32 v7, v28, v31 offset1:25
	ds_write2_b32 v7, v27, v15 offset0:50 offset1:75
	ds_write_b32 v7, v29 offset:400
	v_lshlrev_b32_e32 v33, 5, v26
	s_waitcnt lgkmcnt(0)
	s_barrier
	global_load_dwordx4 v[28:31], v33, s[12:13] offset:976
	v_mul_u32_u24_sdwa v5, v44, s0 dst_sel:DWORD dst_unused:UNUSED_PAD src0_sel:WORD_0 src1_sel:DWORD
	v_sub_u16_sdwa v6, v44, v5 dst_sel:DWORD dst_unused:UNUSED_PAD src0_sel:DWORD src1_sel:WORD_1
	v_lshrrev_b16_e32 v6, 1, v6
	v_add_u16_sdwa v5, v6, v5 dst_sel:DWORD dst_unused:UNUSED_PAD src0_sel:DWORD src1_sel:WORD_1
	v_lshrrev_b16_e32 v5, 6, v5
	v_mul_lo_u16_e32 v5, 0x7d, v5
	v_sub_u16_e32 v15, v44, v5
	v_mul_u32_u24_sdwa v5, v43, s0 dst_sel:DWORD dst_unused:UNUSED_PAD src0_sel:WORD_0 src1_sel:DWORD
	v_lshlrev_b32_e32 v39, 5, v15
	global_load_dwordx4 v[34:37], v39, s[12:13] offset:976
	v_sub_u16_sdwa v6, v43, v5 dst_sel:DWORD dst_unused:UNUSED_PAD src0_sel:DWORD src1_sel:WORD_1
	v_lshrrev_b16_e32 v6, 1, v6
	v_add_u16_sdwa v5, v6, v5 dst_sel:DWORD dst_unused:UNUSED_PAD src0_sel:DWORD src1_sel:WORD_1
	v_lshrrev_b16_e32 v5, 6, v5
	v_mul_lo_u16_e32 v5, 0x7d, v5
	v_sub_u16_e32 v27, v43, v5
	v_lshlrev_b32_e32 v41, 5, v27
	global_load_dwordx4 v[45:48], v41, s[12:13] offset:976
	v_lshlrev_b32_e32 v5, 2, v70
	v_mov_b32_e32 v6, 0
	v_lshlrev_b64 v[7:8], 3, v[5:6]
	v_mov_b32_e32 v42, s13
	v_add_co_u32_e64 v7, s[0:1], s12, v7
	v_addc_co_u32_e64 v8, s[0:1], v42, v8, s[0:1]
	global_load_dwordx4 v[86:89], v[7:8], off offset:976
	global_load_dwordx4 v[90:93], v33, s[12:13] offset:960
	global_load_dwordx4 v[94:97], v39, s[12:13] offset:960
	;; [unrolled: 1-line block ×3, first 2 shown]
	global_load_dwordx4 v[102:105], v[7:8], off offset:960
	ds_read2_b32 v[41:42], v74 offset0:74 offset1:199
	ds_read_b32 v33, v0 offset:12000
	s_waitcnt vmcnt(7) lgkmcnt(1)
	v_mul_f32_e32 v5, v42, v29
	v_fma_f32 v39, v109, v28, -v5
	s_waitcnt lgkmcnt(0)
	v_mul_f32_e32 v5, v33, v31
	v_fma_f32 v49, v110, v30, -v5
	v_mul_f32_e32 v5, v110, v31
	v_fmac_f32_e32 v5, v33, v30
	v_mul_f32_e32 v33, v109, v29
	v_fmac_f32_e32 v33, v42, v28
	ds_read2_b32 v[28:29], v71 offset0:62 offset1:187
	s_waitcnt vmcnt(6)
	v_mul_f32_e32 v30, v41, v35
	v_fma_f32 v62, v108, v34, -v30
	v_mul_f32_e32 v53, v68, v37
	s_waitcnt lgkmcnt(0)
	v_mul_f32_e32 v30, v29, v37
	v_fma_f32 v63, v68, v36, -v30
	v_fmac_f32_e32 v53, v29, v36
	ds_read2_b32 v[29:30], v50 offset0:80 offset1:205
	v_mul_f32_e32 v52, v108, v35
	s_waitcnt vmcnt(5)
	v_mul_f32_e32 v31, v28, v48
	v_mul_f32_e32 v59, v67, v48
	;; [unrolled: 1-line block ×3, first 2 shown]
	v_fmac_f32_e32 v52, v41, v34
	v_fma_f32 v66, v67, v47, -v31
	v_fmac_f32_e32 v59, v28, v47
	s_waitcnt lgkmcnt(0)
	v_mul_f32_e32 v28, v30, v46
	v_fmac_f32_e32 v61, v30, v45
	ds_read2_b32 v[30:31], v54 offset0:68 offset1:193
	ds_read2_b32 v[34:35], v73 offset0:86 offset1:211
	s_waitcnt vmcnt(4)
	v_mul_f32_e32 v76, v106, v87
	v_mul_f32_e32 v80, v82, v89
	v_fma_f32 v67, v107, v45, -v28
	v_mul_f32_e32 v28, v29, v87
	v_fmac_f32_e32 v76, v29, v86
	s_waitcnt lgkmcnt(1)
	v_mul_f32_e32 v29, v30, v89
	v_mul_f32_e32 v79, v83, v89
	v_fmac_f32_e32 v80, v30, v88
	s_waitcnt lgkmcnt(0)
	v_mul_f32_e32 v30, v35, v87
	v_fma_f32 v84, v82, v88, -v29
	v_mul_f32_e32 v29, v31, v89
	v_fmac_f32_e32 v79, v31, v88
	v_fma_f32 v85, v25, v86, -v30
	ds_read2_b32 v[30:31], v75 offset0:104 offset1:229
	v_mul_f32_e32 v82, v25, v87
	s_waitcnt vmcnt(3)
	v_mul_f32_e32 v25, v34, v93
	v_fma_f32 v57, v24, v92, -v25
	v_mul_f32_e32 v25, v24, v93
	s_waitcnt lgkmcnt(0)
	v_mul_f32_e32 v24, v31, v91
	v_fma_f32 v60, v23, v90, -v24
	v_mul_f32_e32 v55, v23, v91
	ds_read2_b32 v[23:24], v72 offset0:92 offset1:217
	v_fmac_f32_e32 v55, v31, v90
	s_waitcnt vmcnt(2)
	v_mul_f32_e32 v31, v30, v95
	v_fma_f32 v77, v22, v94, -v31
	v_mul_f32_e32 v64, v22, v95
	s_waitcnt lgkmcnt(0)
	v_mul_f32_e32 v22, v24, v97
	v_fma_f32 v78, v21, v96, -v22
	v_mul_f32_e32 v65, v21, v97
	ds_read2_b32 v[21:22], v58 offset0:110 offset1:235
	v_fmac_f32_e32 v64, v30, v94
	ds_read2_b32 v[30:31], v56 offset0:98 offset1:223
	v_fmac_f32_e32 v65, v24, v96
	s_waitcnt vmcnt(1)
	v_mul_f32_e32 v24, v23, v101
	v_mul_f32_e32 v68, v20, v101
	;; [unrolled: 1-line block ×3, first 2 shown]
	v_fma_f32 v81, v20, v100, -v24
	v_fmac_f32_e32 v68, v23, v100
	s_waitcnt lgkmcnt(1)
	v_mul_f32_e32 v20, v22, v99
	v_fmac_f32_e32 v69, v22, v98
	ds_read2_b32 v[22:23], v40 offset0:116 offset1:241
	v_fma_f32 v29, v83, v88, -v29
	v_fma_f32 v83, v19, v98, -v20
	s_waitcnt vmcnt(0) lgkmcnt(1)
	v_mul_f32_e32 v20, v30, v105
	v_mul_f32_e32 v19, v21, v103
	v_fma_f32 v88, v16, v104, -v20
	v_mul_f32_e32 v20, v31, v105
	v_fma_f32 v28, v106, v86, -v28
	v_fma_f32 v19, v18, v102, -v19
	;; [unrolled: 1-line block ×3, first 2 shown]
	v_mul_f32_e32 v87, v16, v105
	s_waitcnt lgkmcnt(0)
	v_mul_f32_e32 v16, v23, v103
	v_fmac_f32_e32 v82, v35, v86
	v_mul_f32_e32 v18, v18, v103
	v_mul_f32_e32 v86, v17, v105
	v_fma_f32 v89, v12, v102, -v16
	v_mul_f32_e32 v12, v12, v103
	v_sub_f32_e32 v16, v19, v20
	v_sub_f32_e32 v17, v29, v28
	v_fmac_f32_e32 v18, v21, v102
	v_fmac_f32_e32 v86, v31, v104
	;; [unrolled: 1-line block ×3, first 2 shown]
	v_add_f32_e32 v16, v16, v17
	v_add_f32_e32 v17, v20, v28
	;; [unrolled: 1-line block ×3, first 2 shown]
	v_fma_f32 v17, -0.5, v17, v14
	v_add_f32_e32 v21, v14, v19
	v_fmac_f32_e32 v14, -0.5, v23
	v_sub_f32_e32 v35, v18, v79
	v_sub_f32_e32 v37, v86, v76
	;; [unrolled: 1-line block ×4, first 2 shown]
	v_mov_b32_e32 v36, v17
	v_fmac_f32_e32 v17, 0xbf737871, v35
	v_mov_b32_e32 v41, v14
	v_fmac_f32_e32 v14, 0x3f737871, v37
	v_fmac_f32_e32 v25, v34, v92
	v_add_f32_e32 v34, v23, v24
	v_fmac_f32_e32 v17, 0xbf167918, v37
	v_fmac_f32_e32 v14, 0xbf167918, v35
	v_fmac_f32_e32 v17, 0x3e9e377a, v16
	v_fmac_f32_e32 v14, 0x3e9e377a, v34
	v_fmac_f32_e32 v87, v30, v104
	ds_read2_b32 v[30:31], v0 offset1:125
	ds_read2_b32 v[23:24], v38 offset0:122 offset1:247
	s_waitcnt lgkmcnt(0)
	s_barrier
	ds_write2_b32 v75, v14, v17 offset0:104 offset1:229
	v_add_f32_e32 v14, v88, v85
	v_fma_f32 v14, -0.5, v14, v13
	v_add_f32_e32 v17, v89, v84
	v_sub_f32_e32 v42, v89, v88
	v_sub_f32_e32 v45, v84, v85
	v_fma_f32 v17, -0.5, v17, v13
	v_add_f32_e32 v13, v13, v89
	v_add_f32_e32 v42, v42, v45
	v_sub_f32_e32 v45, v12, v80
	v_mov_b32_e32 v46, v14
	v_add_f32_e32 v13, v13, v88
	v_fmac_f32_e32 v46, 0x3f737871, v45
	v_sub_f32_e32 v47, v87, v82
	v_add_f32_e32 v13, v13, v85
	v_fmac_f32_e32 v46, 0x3f167918, v47
	v_add_f32_e32 v13, v13, v84
	v_fmac_f32_e32 v46, 0x3e9e377a, v42
	ds_write2_b32 v0, v13, v46 offset1:125
	v_sub_f32_e32 v13, v88, v89
	v_sub_f32_e32 v46, v85, v84
	v_add_f32_e32 v13, v13, v46
	v_mov_b32_e32 v46, v17
	v_fmac_f32_e32 v46, 0xbf737871, v47
	v_fmac_f32_e32 v17, 0x3f737871, v47
	;; [unrolled: 1-line block ×7, first 2 shown]
	v_add_f32_e32 v13, v21, v20
	v_fmac_f32_e32 v14, 0xbf167918, v47
	v_add_f32_e32 v13, v13, v28
	v_fmac_f32_e32 v36, 0x3f737871, v35
	v_fmac_f32_e32 v14, 0x3e9e377a, v42
	v_add_f32_e32 v13, v13, v29
	v_fmac_f32_e32 v36, 0x3f167918, v37
	ds_write2_b32 v40, v14, v13 offset0:116 offset1:241
	v_fmac_f32_e32 v36, 0x3e9e377a, v16
	v_add_f32_e32 v13, v57, v39
	v_add_f32_e32 v16, v60, v49
	ds_write2_b32 v38, v46, v17 offset0:122 offset1:247
	v_fmac_f32_e32 v41, 0xbf737871, v37
	v_fma_f32 v13, -0.5, v13, v11
	v_add_f32_e32 v14, v11, v60
	v_fmac_f32_e32 v11, -0.5, v16
	v_sub_f32_e32 v16, v57, v60
	v_sub_f32_e32 v17, v39, v49
	v_fmac_f32_e32 v41, 0x3f167918, v35
	v_add_f32_e32 v16, v16, v17
	v_sub_f32_e32 v17, v25, v33
	v_mov_b32_e32 v21, v11
	v_fmac_f32_e32 v41, 0x3e9e377a, v34
	v_fmac_f32_e32 v21, 0xbf737871, v17
	v_sub_f32_e32 v34, v55, v5
	v_fmac_f32_e32 v11, 0x3f737871, v17
	v_fmac_f32_e32 v21, 0x3f167918, v34
	;; [unrolled: 1-line block ×3, first 2 shown]
	v_lshl_add_u32 v90, v26, 2, 0
	v_fmac_f32_e32 v21, 0x3e9e377a, v16
	v_fmac_f32_e32 v11, 0x3e9e377a, v16
	v_add_u32_e32 v91, 0x2a00, v90
	ds_write2_b32 v58, v36, v41 offset0:110 offset1:235
	ds_write2_b32 v91, v21, v11 offset0:62 offset1:187
	v_add_f32_e32 v11, v78, v62
	v_add_f32_e32 v21, v77, v63
	v_fma_f32 v11, -0.5, v11, v10
	v_add_f32_e32 v16, v10, v77
	v_fmac_f32_e32 v10, -0.5, v21
	v_sub_f32_e32 v21, v78, v77
	v_sub_f32_e32 v26, v62, v63
	v_add_f32_e32 v21, v21, v26
	v_sub_f32_e32 v26, v65, v52
	v_mov_b32_e32 v35, v10
	v_fmac_f32_e32 v35, 0xbf737871, v26
	v_sub_f32_e32 v36, v64, v53
	v_fmac_f32_e32 v10, 0x3f737871, v26
	v_fmac_f32_e32 v35, 0x3f167918, v36
	;; [unrolled: 1-line block ×3, first 2 shown]
	v_lshl_add_u32 v92, v15, 2, 0
	v_fmac_f32_e32 v35, 0x3e9e377a, v21
	v_fmac_f32_e32 v10, 0x3e9e377a, v21
	v_add_u32_e32 v93, 0x2000, v92
	ds_write2_b32 v93, v35, v10 offset0:77 offset1:202
	v_add_f32_e32 v10, v81, v67
	v_fma_f32 v10, -0.5, v10, v9
	v_add_f32_e32 v15, v83, v66
	v_sub_f32_e32 v21, v83, v81
	v_sub_f32_e32 v35, v66, v67
	v_fma_f32 v15, -0.5, v15, v9
	v_add_f32_e32 v9, v9, v83
	v_add_f32_e32 v21, v21, v35
	v_sub_f32_e32 v35, v69, v59
	v_mov_b32_e32 v37, v10
	v_add_f32_e32 v9, v9, v81
	v_fmac_f32_e32 v37, 0x3f737871, v35
	v_sub_f32_e32 v41, v68, v61
	v_add_f32_e32 v9, v9, v67
	v_fmac_f32_e32 v37, 0x3f167918, v41
	v_lshl_add_u32 v94, v27, 2, 0
	v_add_f32_e32 v9, v9, v66
	v_fmac_f32_e32 v37, 0x3e9e377a, v21
	v_add_u32_e32 v95, 0x1200, v94
	ds_write2_b32 v95, v9, v37 offset0:98 offset1:223
	v_sub_f32_e32 v9, v81, v83
	v_sub_f32_e32 v27, v67, v66
	v_add_f32_e32 v9, v9, v27
	v_mov_b32_e32 v27, v15
	v_fmac_f32_e32 v27, 0xbf737871, v41
	v_fmac_f32_e32 v15, 0x3f737871, v41
	;; [unrolled: 1-line block ×6, first 2 shown]
	v_add_u32_e32 v96, 0x1600, v94
	ds_write2_b32 v96, v27, v15 offset0:92 offset1:217
	v_sub_f32_e32 v9, v77, v78
	v_sub_f32_e32 v15, v63, v62
	v_add_f32_e32 v9, v9, v15
	v_add_f32_e32 v15, v16, v78
	v_mov_b32_e32 v16, v11
	v_fmac_f32_e32 v16, 0x3f737871, v36
	v_add_f32_e32 v15, v15, v62
	v_fmac_f32_e32 v16, 0x3f167918, v26
	v_add_f32_e32 v15, v15, v63
	v_fmac_f32_e32 v16, 0x3e9e377a, v9
	v_add_u32_e32 v97, 0x1c00, v92
	ds_write2_b32 v97, v15, v16 offset0:83 offset1:208
	v_sub_f32_e32 v15, v60, v57
	v_sub_f32_e32 v16, v49, v39
	v_add_f32_e32 v15, v15, v16
	v_mov_b32_e32 v16, v13
	v_add_f32_e32 v14, v14, v57
	v_fmac_f32_e32 v16, 0x3f737871, v34
	v_add_f32_e32 v14, v14, v39
	v_fmac_f32_e32 v16, 0x3f167918, v17
	;; [unrolled: 2-line block ×3, first 2 shown]
	v_add_u32_e32 v98, 0x2600, v90
	ds_write2_b32 v98, v14, v16 offset0:68 offset1:193
	v_sub_f32_e32 v14, v18, v86
	v_sub_f32_e32 v16, v79, v76
	v_add_f32_e32 v101, v14, v16
	v_add_f32_e32 v14, v86, v76
	v_fmac_f32_e32 v10, 0xbf737871, v35
	v_fmac_f32_e32 v13, 0xbf737871, v34
	v_fma_f32 v102, -0.5, v14, v31
	v_add_f32_e32 v14, v18, v79
	v_fmac_f32_e32 v10, 0xbf167918, v41
	v_fmac_f32_e32 v11, 0xbf737871, v36
	v_fmac_f32_e32 v13, 0xbf167918, v17
	v_sub_f32_e32 v99, v19, v29
	v_sub_f32_e32 v100, v20, v28
	v_add_f32_e32 v103, v31, v18
	v_fmac_f32_e32 v31, -0.5, v14
	v_fmac_f32_e32 v10, 0x3e9e377a, v21
	v_fmac_f32_e32 v11, 0xbf167918, v26
	;; [unrolled: 1-line block ×3, first 2 shown]
	v_sub_f32_e32 v14, v86, v18
	v_sub_f32_e32 v16, v76, v79
	v_fmac_f32_e32 v11, 0x3e9e377a, v9
	ds_write_b32 v94, v10 offset:7000
	ds_write_b32 v92, v11 offset:9500
	;; [unrolled: 1-line block ×3, first 2 shown]
	v_mov_b32_e32 v13, v102
	v_fmac_f32_e32 v102, 0x3f737871, v99
	v_mov_b32_e32 v105, v31
	v_fmac_f32_e32 v31, 0xbf737871, v100
	v_add_f32_e32 v104, v14, v16
	v_fmac_f32_e32 v102, 0x3f167918, v100
	v_fmac_f32_e32 v31, 0x3f167918, v99
	;; [unrolled: 1-line block ×4, first 2 shown]
	s_waitcnt lgkmcnt(0)
	s_barrier
	ds_read_b32 v11, v0 offset:12000
	ds_read2_b32 v[9:10], v0 offset1:125
	ds_read2_b32 v[18:19], v40 offset0:116 offset1:241
	ds_read2_b32 v[16:17], v56 offset0:98 offset1:223
	;; [unrolled: 1-line block ×11, first 2 shown]
	s_waitcnt lgkmcnt(0)
	s_barrier
	ds_write2_b32 v75, v31, v102 offset0:104 offset1:229
	v_add_f32_e32 v31, v87, v82
	v_fma_f32 v31, -0.5, v31, v30
	v_add_f32_e32 v102, v12, v80
	v_sub_f32_e32 v84, v89, v84
	v_sub_f32_e32 v85, v88, v85
	;; [unrolled: 1-line block ×4, first 2 shown]
	v_fma_f32 v102, -0.5, v102, v30
	v_add_f32_e32 v30, v30, v12
	v_add_f32_e32 v88, v88, v89
	v_mov_b32_e32 v89, v31
	v_add_f32_e32 v30, v30, v87
	v_fmac_f32_e32 v89, 0xbf737871, v84
	v_add_f32_e32 v30, v30, v82
	v_fmac_f32_e32 v89, 0xbf167918, v85
	;; [unrolled: 2-line block ×3, first 2 shown]
	ds_write2_b32 v0, v30, v89 offset1:125
	v_sub_f32_e32 v12, v87, v12
	v_sub_f32_e32 v30, v82, v80
	v_add_f32_e32 v12, v12, v30
	v_mov_b32_e32 v30, v102
	v_fmac_f32_e32 v30, 0x3f737871, v85
	v_fmac_f32_e32 v102, 0xbf737871, v85
	;; [unrolled: 1-line block ×7, first 2 shown]
	v_add_f32_e32 v12, v103, v86
	v_fmac_f32_e32 v31, 0x3f167918, v85
	v_add_f32_e32 v12, v12, v76
	v_fmac_f32_e32 v31, 0x3e9e377a, v88
	;; [unrolled: 2-line block ×3, first 2 shown]
	v_fmac_f32_e32 v105, 0x3f737871, v100
	ds_write2_b32 v40, v31, v12 offset0:116 offset1:241
	v_fmac_f32_e32 v13, 0xbf167918, v100
	v_fmac_f32_e32 v105, 0xbf167918, v99
	v_sub_f32_e32 v12, v83, v66
	v_add_f32_e32 v66, v68, v61
	ds_write2_b32 v38, v30, v102 offset0:122 offset1:247
	v_fmac_f32_e32 v13, 0x3e9e377a, v101
	v_fmac_f32_e32 v105, 0x3e9e377a, v104
	v_sub_f32_e32 v30, v69, v68
	v_sub_f32_e32 v31, v59, v61
	v_fma_f32 v66, -0.5, v66, v23
	ds_write2_b32 v58, v13, v105 offset0:110 offset1:235
	v_sub_f32_e32 v13, v81, v67
	v_add_f32_e32 v30, v30, v31
	v_add_f32_e32 v31, v23, v69
	v_mov_b32_e32 v67, v66
	v_add_f32_e32 v31, v31, v68
	v_fmac_f32_e32 v67, 0xbf737871, v12
	v_add_f32_e32 v31, v31, v61
	v_fmac_f32_e32 v67, 0xbf167918, v13
	;; [unrolled: 2-line block ×3, first 2 shown]
	ds_write2_b32 v95, v31, v67 offset0:98 offset1:223
	v_sub_f32_e32 v31, v77, v63
	v_add_f32_e32 v63, v65, v52
	v_add_f32_e32 v76, v64, v53
	v_fma_f32 v63, -0.5, v63, v24
	v_add_f32_e32 v67, v24, v64
	v_fmac_f32_e32 v24, -0.5, v76
	v_sub_f32_e32 v76, v65, v64
	v_sub_f32_e32 v77, v52, v53
	;; [unrolled: 1-line block ×3, first 2 shown]
	v_add_f32_e32 v76, v76, v77
	v_mov_b32_e32 v77, v24
	v_fmac_f32_e32 v77, 0x3f737871, v62
	v_fmac_f32_e32 v24, 0xbf737871, v62
	;; [unrolled: 1-line block ×6, first 2 shown]
	ds_write2_b32 v93, v77, v24 offset0:77 offset1:202
	v_add_f32_e32 v24, v69, v59
	v_fma_f32 v23, -0.5, v24, v23
	v_sub_f32_e32 v24, v68, v69
	v_sub_f32_e32 v59, v61, v59
	v_add_f32_e32 v24, v24, v59
	v_mov_b32_e32 v59, v23
	v_fmac_f32_e32 v59, 0x3f737871, v13
	v_fmac_f32_e32 v23, 0xbf737871, v13
	;; [unrolled: 1-line block ×7, first 2 shown]
	ds_write2_b32 v96, v59, v23 offset0:92 offset1:217
	v_fmac_f32_e32 v66, 0x3f167918, v13
	v_sub_f32_e32 v13, v64, v65
	v_sub_f32_e32 v23, v53, v52
	v_add_f32_e32 v13, v13, v23
	v_mov_b32_e32 v23, v63
	v_fmac_f32_e32 v66, 0x3e9e377a, v30
	v_fmac_f32_e32 v23, 0xbf737871, v31
	;; [unrolled: 1-line block ×3, first 2 shown]
	v_sub_f32_e32 v30, v55, v25
	v_sub_f32_e32 v31, v5, v33
	v_add_f32_e32 v30, v30, v31
	v_add_f32_e32 v31, v25, v33
	v_fmac_f32_e32 v23, 0xbf167918, v62
	v_fmac_f32_e32 v63, 0x3f167918, v62
	v_fma_f32 v31, -0.5, v31, v22
	v_fmac_f32_e32 v23, 0x3e9e377a, v13
	v_fmac_f32_e32 v63, 0x3e9e377a, v13
	v_sub_f32_e32 v13, v60, v49
	v_sub_f32_e32 v24, v57, v39
	v_mov_b32_e32 v39, v31
	v_fmac_f32_e32 v39, 0xbf737871, v13
	v_fmac_f32_e32 v31, 0x3f737871, v13
	;; [unrolled: 1-line block ×6, first 2 shown]
	v_add_f32_e32 v30, v22, v55
	v_add_f32_e32 v30, v30, v25
	;; [unrolled: 1-line block ×4, first 2 shown]
	v_fmac_f32_e32 v22, -0.5, v49
	v_sub_f32_e32 v25, v25, v55
	v_add_f32_e32 v30, v30, v5
	v_sub_f32_e32 v5, v33, v5
	v_add_f32_e32 v12, v67, v65
	v_add_f32_e32 v5, v25, v5
	v_mov_b32_e32 v25, v22
	v_add_f32_e32 v12, v12, v52
	v_fmac_f32_e32 v25, 0x3f737871, v24
	v_fmac_f32_e32 v22, 0xbf737871, v24
	v_add_f32_e32 v12, v12, v53
	v_fmac_f32_e32 v25, 0xbf167918, v13
	v_fmac_f32_e32 v22, 0x3f167918, v13
	ds_write_b32 v94, v66 offset:7000
	v_fmac_f32_e32 v25, 0x3e9e377a, v5
	v_fmac_f32_e32 v22, 0x3e9e377a, v5
	ds_write2_b32 v97, v12, v23 offset0:83 offset1:208
	ds_write_b32 v92, v63 offset:9500
	ds_write2_b32 v98, v30, v39 offset0:68 offset1:193
	ds_write2_b32 v91, v25, v22 offset0:62 offset1:187
	ds_write_b32 v90, v31 offset:12000
	s_waitcnt lgkmcnt(0)
	s_barrier
	s_and_saveexec_b64 s[0:1], vcc
	s_cbranch_execz .LBB0_15
; %bb.14:
	v_lshlrev_b32_e32 v5, 2, v32
	v_lshlrev_b64 v[12:13], 3, v[5:6]
	v_mov_b32_e32 v52, s13
	v_add_co_u32_e32 v5, vcc, s12, v12
	v_addc_co_u32_e32 v13, vcc, v52, v13, vcc
	v_add_co_u32_e32 v12, vcc, 0x1360, v5
	s_mov_b64 s[0:1], vcc
	v_add_co_u32_e32 v22, vcc, 0x1000, v5
	v_addc_co_u32_e32 v23, vcc, 0, v13, vcc
	v_addc_co_u32_e64 v13, vcc, 0, v13, s[0:1]
	global_load_dwordx4 v[22:25], v[22:23], off offset:864
	v_mad_u64_u32 v[30:31], s[0:1], s2, v3, 0
	global_load_dwordx4 v[59:62], v[12:13], off offset:16
	v_mul_lo_u32 v12, s3, v3
	v_mul_lo_u32 v13, s2, v4
	v_lshlrev_b32_e32 v5, 2, v44
	v_lshlrev_b64 v[3:4], 3, v[5:6]
	s_movk_i32 s0, 0x1000
	v_add_co_u32_e32 v5, vcc, s12, v3
	v_add3_u32 v31, v31, v13, v12
	v_addc_co_u32_e32 v12, vcc, v52, v4, vcc
	v_add_co_u32_e32 v3, vcc, s0, v5
	s_movk_i32 s1, 0x1360
	v_addc_co_u32_e32 v4, vcc, 0, v12, vcc
	ds_read2_b32 v[32:33], v73 offset0:86 offset1:211
	ds_read2_b32 v[67:68], v75 offset0:104 offset1:229
	;; [unrolled: 1-line block ×3, first 2 shown]
	ds_read_b32 v49, v0 offset:12000
	ds_read2_b32 v[39:40], v40 offset0:116 offset1:241
	global_load_dwordx4 v[63:66], v[3:4], off offset:864
	v_add_co_u32_e32 v3, vcc, s1, v5
	v_addc_co_u32_e32 v4, vcc, 0, v12, vcc
	global_load_dwordx4 v[73:76], v[3:4], off offset:16
	ds_read2_b32 v[83:84], v50 offset0:80 offset1:205
	v_lshlrev_b64 v[30:31], 3, v[30:31]
	s_waitcnt vmcnt(3) lgkmcnt(4)
	v_mul_f32_e32 v5, v22, v68
	v_fmac_f32_e32 v5, v42, v23
	v_mul_f32_e32 v3, v24, v32
	s_waitcnt vmcnt(2) lgkmcnt(2)
	v_mul_f32_e32 v53, v61, v49
	v_mul_f32_e32 v12, v62, v49
	v_fmac_f32_e32 v53, v11, v62
	v_mul_f32_e32 v13, v25, v32
	v_mul_f32_e32 v32, v60, v80
	v_fma_f32 v49, v11, v61, -v12
	v_add_f32_e32 v12, v5, v53
	v_mul_f32_e32 v44, v59, v80
	v_mul_f32_e32 v4, v23, v68
	v_fmac_f32_e32 v3, v14, v25
	v_fma_f32 v24, v14, v24, -v13
	v_fma_f32 v32, v37, v59, -v32
	s_waitcnt lgkmcnt(1)
	v_fma_f32 v14, -0.5, v12, v39
	v_fmac_f32_e32 v44, v37, v60
	v_fma_f32 v42, v42, v22, -v4
	v_sub_f32_e32 v22, v24, v32
	v_mov_b32_e32 v12, v14
	v_sub_f32_e32 v4, v3, v5
	v_sub_f32_e32 v11, v44, v53
	;; [unrolled: 1-line block ×5, first 2 shown]
	v_add_f32_e32 v37, v3, v44
	v_fmac_f32_e32 v14, 0x3f737871, v22
	v_fmac_f32_e32 v12, 0xbf737871, v22
	v_add_f32_e32 v11, v4, v11
	v_add_f32_e32 v60, v23, v25
	v_fma_f32 v23, -0.5, v37, v39
	v_fmac_f32_e32 v14, 0xbf167918, v13
	v_fmac_f32_e32 v12, 0x3f167918, v13
	v_mov_b32_e32 v4, v23
	v_fmac_f32_e32 v14, 0x3e9e377a, v11
	v_fmac_f32_e32 v12, 0x3e9e377a, v11
	v_add_f32_e32 v11, v42, v49
	v_fmac_f32_e32 v23, 0xbf737871, v13
	v_fmac_f32_e32 v4, 0x3f737871, v13
	v_fma_f32 v13, -0.5, v11, v18
	v_sub_f32_e32 v37, v3, v44
	v_mov_b32_e32 v11, v13
	v_add_f32_e32 v55, v5, v39
	v_sub_f32_e32 v57, v24, v42
	v_sub_f32_e32 v59, v32, v49
	v_fmac_f32_e32 v11, 0x3f737871, v37
	v_sub_f32_e32 v5, v5, v53
	v_fmac_f32_e32 v13, 0xbf737871, v37
	v_fmac_f32_e32 v23, 0xbf167918, v22
	;; [unrolled: 1-line block ×3, first 2 shown]
	v_add_f32_e32 v22, v57, v59
	v_fmac_f32_e32 v11, 0xbf167918, v5
	v_fmac_f32_e32 v13, 0x3f167918, v5
	v_add_f32_e32 v25, v3, v55
	v_fmac_f32_e32 v11, 0x3e9e377a, v22
	v_fmac_f32_e32 v13, 0x3e9e377a, v22
	v_sub_f32_e32 v3, v42, v24
	v_sub_f32_e32 v22, v49, v32
	v_add_f32_e32 v39, v3, v22
	v_add_f32_e32 v3, v24, v32
	v_fma_f32 v22, -0.5, v3, v18
	v_mov_b32_e32 v3, v22
	v_fmac_f32_e32 v3, 0xbf737871, v5
	v_fmac_f32_e32 v22, 0x3f737871, v5
	v_add_f32_e32 v5, v18, v42
	v_add_f32_e32 v5, v24, v5
	;; [unrolled: 1-line block ×4, first 2 shown]
	v_lshlrev_b32_e32 v5, 2, v43
	v_lshlrev_b64 v[42:43], 3, v[5:6]
	ds_read2_b32 v[68:69], v72 offset0:92 offset1:217
	ds_read2_b32 v[71:72], v71 offset0:62 offset1:187
	v_fmac_f32_e32 v3, 0xbf167918, v37
	v_fmac_f32_e32 v22, 0x3f167918, v37
	v_add_co_u32_e32 v5, vcc, s12, v42
	v_fmac_f32_e32 v3, 0x3e9e377a, v39
	v_fmac_f32_e32 v22, 0x3e9e377a, v39
	v_addc_co_u32_e32 v39, vcc, v52, v43, vcc
	v_add_co_u32_e32 v42, vcc, s0, v5
	v_add_f32_e32 v25, v44, v25
	v_addc_co_u32_e32 v43, vcc, 0, v39, vcc
	v_add_f32_e32 v25, v53, v25
	v_fmac_f32_e32 v23, 0x3e9e377a, v60
	v_fmac_f32_e32 v4, 0x3e9e377a, v60
	s_waitcnt vmcnt(1) lgkmcnt(1)
	v_mul_f32_e32 v18, v65, v69
	v_mul_f32_e32 v32, v63, v67
	global_load_dwordx4 v[59:62], v[42:43], off offset:864
	s_waitcnt vmcnt(1)
	v_mul_f32_e32 v43, v73, v79
	s_waitcnt lgkmcnt(0)
	v_mul_f32_e32 v53, v75, v72
	v_fmac_f32_e32 v18, v46, v66
	v_fmac_f32_e32 v32, v41, v64
	;; [unrolled: 1-line block ×4, first 2 shown]
	v_sub_f32_e32 v37, v18, v32
	v_sub_f32_e32 v42, v43, v53
	v_add_f32_e32 v44, v37, v42
	v_mul_f32_e32 v37, v64, v67
	v_fma_f32 v55, v41, v63, -v37
	v_mul_f32_e32 v37, v76, v72
	v_fma_f32 v48, v48, v75, -v37
	v_add_co_u32_e32 v37, vcc, s1, v5
	ds_read2_b32 v[80:81], v38 offset0:122 offset1:247
	v_addc_co_u32_e32 v38, vcc, 0, v39, vcc
	global_load_dwordx4 v[75:78], v[37:38], off offset:16
	v_add_f32_e32 v37, v32, v53
	s_waitcnt lgkmcnt(0)
	v_fma_f32 v42, -0.5, v37, v81
	v_mul_f32_e32 v37, v66, v69
	v_fma_f32 v46, v46, v65, -v37
	v_mul_f32_e32 v37, v74, v79
	v_fma_f32 v57, v36, v73, -v37
	v_sub_f32_e32 v36, v46, v57
	v_mov_b32_e32 v39, v42
	v_sub_f32_e32 v5, v55, v48
	v_fmac_f32_e32 v39, 0xbf737871, v36
	v_fmac_f32_e32 v42, 0x3f737871, v36
	v_sub_f32_e32 v37, v32, v18
	v_sub_f32_e32 v38, v53, v43
	v_fmac_f32_e32 v39, 0x3f167918, v5
	v_fmac_f32_e32 v42, 0xbf167918, v5
	v_add_f32_e32 v38, v37, v38
	v_add_f32_e32 v37, v18, v43
	v_fmac_f32_e32 v39, 0x3e9e377a, v44
	v_fmac_f32_e32 v42, 0x3e9e377a, v44
	v_fma_f32 v44, -0.5, v37, v81
	v_mov_b32_e32 v37, v44
	v_fmac_f32_e32 v37, 0x3f737871, v5
	v_fmac_f32_e32 v44, 0xbf737871, v5
	v_add_f32_e32 v5, v32, v81
	v_add_f32_e32 v5, v18, v5
	;; [unrolled: 1-line block ×3, first 2 shown]
	v_fmac_f32_e32 v37, 0x3f167918, v36
	v_fmac_f32_e32 v44, 0xbf167918, v36
	v_add_f32_e32 v49, v53, v5
	v_sub_f32_e32 v5, v46, v55
	v_sub_f32_e32 v36, v57, v48
	v_add_f32_e32 v5, v5, v36
	v_add_f32_e32 v36, v55, v48
	v_fma_f32 v41, -0.5, v36, v35
	v_fmac_f32_e32 v37, 0x3e9e377a, v38
	v_fmac_f32_e32 v44, 0x3e9e377a, v38
	v_sub_f32_e32 v18, v18, v43
	v_mov_b32_e32 v38, v41
	v_fmac_f32_e32 v38, 0x3f737871, v18
	v_sub_f32_e32 v32, v32, v53
	v_fmac_f32_e32 v41, 0xbf737871, v18
	v_fmac_f32_e32 v38, 0xbf167918, v32
	;; [unrolled: 1-line block ×5, first 2 shown]
	v_sub_f32_e32 v5, v55, v46
	v_sub_f32_e32 v36, v48, v57
	v_add_f32_e32 v5, v5, v36
	v_add_f32_e32 v36, v46, v57
	v_fma_f32 v43, -0.5, v36, v35
	v_mov_b32_e32 v36, v43
	v_fmac_f32_e32 v36, 0xbf737871, v32
	v_fmac_f32_e32 v43, 0x3f737871, v32
	;; [unrolled: 1-line block ×6, first 2 shown]
	v_add_f32_e32 v5, v35, v55
	v_add_f32_e32 v5, v46, v5
	;; [unrolled: 1-line block ×3, first 2 shown]
	ds_read2_b32 v[81:82], v58 offset0:110 offset1:235
	v_add_f32_e32 v48, v5, v48
	v_lshlrev_b32_e32 v5, 2, v51
	v_lshlrev_b64 v[50:51], 3, v[5:6]
	s_waitcnt vmcnt(1)
	v_mul_f32_e32 v18, v61, v68
	v_add_co_u32_e32 v5, vcc, s12, v50
	v_addc_co_u32_e32 v35, vcc, v52, v51, vcc
	s_waitcnt lgkmcnt(0)
	v_mul_f32_e32 v32, v59, v82
	v_add_co_u32_e32 v50, vcc, s0, v5
	v_fmac_f32_e32 v18, v45, v62
	v_addc_co_u32_e32 v51, vcc, 0, v35, vcc
	v_fmac_f32_e32 v32, v29, v60
	global_load_dwordx4 v[63:66], v[50:51], off offset:864
	v_sub_f32_e32 v46, v18, v32
	s_waitcnt vmcnt(1)
	v_mul_f32_e32 v52, v75, v84
	v_mul_f32_e32 v53, v77, v71
	v_fmac_f32_e32 v52, v27, v76
	v_fmac_f32_e32 v53, v47, v78
	v_sub_f32_e32 v50, v52, v53
	v_add_f32_e32 v46, v46, v50
	v_mul_f32_e32 v50, v60, v82
	v_fma_f32 v29, v29, v59, -v50
	v_add_co_u32_e32 v50, vcc, s1, v5
	v_addc_co_u32_e32 v51, vcc, 0, v35, vcc
	v_mul_f32_e32 v55, v78, v71
	global_load_dwordx4 v[57:60], v[50:51], off offset:16
	v_fma_f32 v5, v47, v77, -v55
	v_add_f32_e32 v47, v32, v53
	v_fma_f32 v69, -0.5, v47, v80
	v_mul_f32_e32 v47, v62, v68
	v_fma_f32 v47, v45, v61, -v47
	v_mul_f32_e32 v45, v76, v84
	v_fma_f32 v27, v27, v75, -v45
	v_sub_f32_e32 v45, v47, v27
	v_mov_b32_e32 v51, v69
	v_sub_f32_e32 v35, v29, v5
	v_fmac_f32_e32 v51, 0xbf737871, v45
	v_fmac_f32_e32 v69, 0x3f737871, v45
	;; [unrolled: 1-line block ×6, first 2 shown]
	v_sub_f32_e32 v46, v32, v18
	v_sub_f32_e32 v50, v53, v52
	v_add_f32_e32 v50, v46, v50
	v_add_f32_e32 v46, v18, v52
	v_fma_f32 v62, -0.5, v46, v80
	v_mov_b32_e32 v46, v62
	v_fmac_f32_e32 v46, 0x3f737871, v35
	v_fmac_f32_e32 v62, 0xbf737871, v35
	;; [unrolled: 1-line block ×6, first 2 shown]
	v_sub_f32_e32 v45, v47, v29
	v_sub_f32_e32 v50, v27, v5
	v_add_f32_e32 v45, v45, v50
	v_add_f32_e32 v50, v29, v5
	v_add_f32_e32 v35, v32, v80
	v_fma_f32 v68, -0.5, v50, v34
	v_add_f32_e32 v35, v18, v35
	v_sub_f32_e32 v18, v18, v52
	v_mov_b32_e32 v50, v68
	v_fmac_f32_e32 v50, 0x3f737871, v18
	v_sub_f32_e32 v32, v32, v53
	v_fmac_f32_e32 v68, 0xbf737871, v18
	v_fmac_f32_e32 v50, 0xbf167918, v32
	;; [unrolled: 1-line block ×3, first 2 shown]
	v_add_f32_e32 v35, v52, v35
	v_fmac_f32_e32 v50, 0x3e9e377a, v45
	v_fmac_f32_e32 v68, 0x3e9e377a, v45
	v_sub_f32_e32 v45, v29, v47
	v_sub_f32_e32 v52, v5, v27
	v_add_f32_e32 v52, v45, v52
	v_add_f32_e32 v45, v47, v27
	v_fma_f32 v61, -0.5, v45, v34
	v_mov_b32_e32 v45, v61
	v_fmac_f32_e32 v45, 0xbf737871, v32
	v_fmac_f32_e32 v61, 0x3f737871, v32
	;; [unrolled: 1-line block ×6, first 2 shown]
	v_add_co_u32_e32 v52, vcc, s0, v7
	v_add_f32_e32 v35, v53, v35
	v_addc_co_u32_e32 v53, vcc, 0, v8, vcc
	v_add_co_u32_e32 v7, vcc, s1, v7
	v_addc_co_u32_e32 v8, vcc, 0, v8, vcc
	ds_read2_b32 v[77:78], v54 offset0:68 offset1:193
	global_load_dwordx4 v[52:55], v[52:53], off offset:864
	ds_read2_b32 v[75:76], v56 offset0:98 offset1:223
	global_load_dwordx4 v[71:74], v[7:8], off offset:16
	v_add_f32_e32 v18, v34, v29
	v_add_f32_e32 v18, v47, v18
	;; [unrolled: 1-line block ×4, first 2 shown]
	s_waitcnt vmcnt(3) lgkmcnt(0)
	v_mul_f32_e32 v5, v65, v76
	v_mul_f32_e32 v32, v63, v81
	v_fmac_f32_e32 v5, v17, v66
	v_fmac_f32_e32 v32, v28, v64
	v_sub_f32_e32 v7, v5, v32
	s_waitcnt vmcnt(2)
	v_mul_f32_e32 v47, v57, v83
	v_mul_f32_e32 v56, v59, v78
	v_fmac_f32_e32 v47, v26, v58
	v_fmac_f32_e32 v56, v21, v60
	v_sub_f32_e32 v8, v47, v56
	v_add_f32_e32 v29, v7, v8
	v_mul_f32_e32 v7, v64, v81
	v_fma_f32 v63, v28, v63, -v7
	ds_read2_b32 v[7:8], v0 offset1:125
	v_mul_f32_e32 v27, v66, v76
	v_mul_f32_e32 v0, v60, v78
	v_add_f32_e32 v18, v32, v56
	v_fma_f32 v60, v17, v65, -v27
	v_mul_f32_e32 v17, v58, v83
	s_waitcnt lgkmcnt(0)
	v_fma_f32 v18, -0.5, v18, v8
	v_fma_f32 v58, v26, v57, -v17
	v_fma_f32 v0, v21, v59, -v0
	v_sub_f32_e32 v17, v60, v58
	v_mov_b32_e32 v27, v18
	v_sub_f32_e32 v21, v63, v0
	v_fmac_f32_e32 v27, 0xbf737871, v17
	v_fmac_f32_e32 v18, 0x3f737871, v17
	v_sub_f32_e32 v26, v32, v5
	v_sub_f32_e32 v28, v56, v47
	v_fmac_f32_e32 v27, 0x3f167918, v21
	v_fmac_f32_e32 v18, 0xbf167918, v21
	v_add_f32_e32 v26, v26, v28
	v_add_f32_e32 v28, v5, v47
	v_fmac_f32_e32 v27, 0x3e9e377a, v29
	v_fmac_f32_e32 v18, 0x3e9e377a, v29
	v_fma_f32 v29, -0.5, v28, v8
	v_add_f32_e32 v8, v32, v8
	v_mov_b32_e32 v57, v29
	v_add_f32_e32 v8, v5, v8
	v_fmac_f32_e32 v57, 0x3f737871, v21
	v_fmac_f32_e32 v29, 0xbf737871, v21
	v_add_f32_e32 v8, v47, v8
	v_fmac_f32_e32 v57, 0x3f167918, v17
	v_fmac_f32_e32 v29, 0xbf167918, v17
	v_add_f32_e32 v59, v56, v8
	v_sub_f32_e32 v8, v60, v63
	v_sub_f32_e32 v17, v58, v0
	v_add_f32_e32 v8, v8, v17
	v_add_f32_e32 v17, v63, v0
	v_fma_f32 v17, -0.5, v17, v10
	v_fmac_f32_e32 v57, 0x3e9e377a, v26
	v_fmac_f32_e32 v29, 0x3e9e377a, v26
	v_sub_f32_e32 v5, v5, v47
	v_mov_b32_e32 v26, v17
	v_fmac_f32_e32 v26, 0x3f737871, v5
	v_sub_f32_e32 v21, v32, v56
	v_fmac_f32_e32 v17, 0xbf737871, v5
	v_fmac_f32_e32 v26, 0xbf167918, v21
	;; [unrolled: 1-line block ×5, first 2 shown]
	v_sub_f32_e32 v8, v63, v60
	v_sub_f32_e32 v28, v0, v58
	v_add_f32_e32 v8, v8, v28
	v_add_f32_e32 v28, v60, v58
	v_fma_f32 v28, -0.5, v28, v10
	v_mov_b32_e32 v56, v28
	v_fmac_f32_e32 v56, 0xbf737871, v21
	v_fmac_f32_e32 v28, 0x3f737871, v21
	v_fmac_f32_e32 v56, 0xbf167918, v5
	v_fmac_f32_e32 v28, 0x3f167918, v5
	v_add_f32_e32 v5, v10, v63
	v_add_f32_e32 v5, v60, v5
	v_add_f32_e32 v5, v5, v58
	v_add_f32_e32 v58, v5, v0
	s_waitcnt vmcnt(1)
	v_mul_f32_e32 v0, v54, v75
	v_mul_f32_e32 v5, v52, v40
	s_waitcnt vmcnt(0)
	v_mul_f32_e32 v21, v71, v33
	v_mul_f32_e32 v32, v73, v77
	v_fmac_f32_e32 v0, v16, v55
	v_fmac_f32_e32 v5, v19, v53
	;; [unrolled: 1-line block ×6, first 2 shown]
	v_sub_f32_e32 v8, v0, v5
	v_sub_f32_e32 v10, v21, v32
	v_add_f32_e32 v10, v8, v10
	v_mul_f32_e32 v8, v53, v40
	v_fma_f32 v40, v19, v52, -v8
	v_mul_f32_e32 v8, v74, v77
	v_fma_f32 v47, v20, v73, -v8
	v_mul_f32_e32 v20, v55, v75
	v_add_f32_e32 v8, v5, v32
	v_fma_f32 v52, v16, v54, -v20
	v_mul_f32_e32 v16, v72, v33
	v_fma_f32 v8, -0.5, v8, v7
	v_fma_f32 v53, v15, v71, -v16
	v_sub_f32_e32 v15, v52, v53
	v_mov_b32_e32 v16, v8
	v_sub_f32_e32 v19, v40, v47
	v_fmac_f32_e32 v16, 0xbf737871, v15
	v_fmac_f32_e32 v8, 0x3f737871, v15
	v_fmac_f32_e32 v16, 0x3f167918, v19
	v_fmac_f32_e32 v8, 0xbf167918, v19
	v_fmac_f32_e32 v16, 0x3e9e377a, v10
	v_fmac_f32_e32 v8, 0x3e9e377a, v10
	v_sub_f32_e32 v10, v5, v0
	v_sub_f32_e32 v20, v32, v21
	v_add_f32_e32 v10, v10, v20
	v_add_f32_e32 v20, v0, v21
	v_fma_f32 v20, -0.5, v20, v7
	v_mov_b32_e32 v33, v20
	v_add_f32_e32 v7, v5, v7
	v_fmac_f32_e32 v33, 0x3f737871, v19
	v_fmac_f32_e32 v20, 0xbf737871, v19
	v_add_f32_e32 v7, v0, v7
	v_fmac_f32_e32 v33, 0x3f167918, v15
	v_fmac_f32_e32 v20, 0xbf167918, v15
	;; [unrolled: 3-line block ×3, first 2 shown]
	v_add_f32_e32 v10, v32, v7
	v_sub_f32_e32 v7, v52, v40
	v_sub_f32_e32 v15, v53, v47
	v_add_f32_e32 v19, v7, v15
	v_add_f32_e32 v7, v40, v47
	v_fma_f32 v7, -0.5, v7, v9
	v_sub_f32_e32 v0, v0, v21
	v_mov_b32_e32 v15, v7
	v_fmac_f32_e32 v15, 0x3f737871, v0
	v_sub_f32_e32 v5, v5, v32
	v_fmac_f32_e32 v7, 0xbf737871, v0
	v_fmac_f32_e32 v15, 0xbf167918, v5
	;; [unrolled: 1-line block ×5, first 2 shown]
	v_sub_f32_e32 v19, v40, v52
	v_sub_f32_e32 v21, v47, v53
	v_add_f32_e32 v21, v19, v21
	v_add_f32_e32 v19, v52, v53
	v_fma_f32 v19, -0.5, v19, v9
	v_mov_b32_e32 v32, v19
	s_mov_b32 s1, 0xd1b71759
	v_fmac_f32_e32 v32, 0xbf737871, v5
	v_fmac_f32_e32 v19, 0x3f737871, v5
	v_mul_hi_u32 v5, v70, s1
	v_fmac_f32_e32 v32, 0xbf167918, v0
	v_fmac_f32_e32 v19, 0x3f167918, v0
	v_add_f32_e32 v0, v9, v40
	v_add_f32_e32 v0, v52, v0
	;; [unrolled: 1-line block ×4, first 2 shown]
	v_lshrrev_b32_e32 v0, 9, v5
	v_mul_u32_u24_e32 v0, 0x271, v0
	v_fmac_f32_e32 v32, 0x3e9e377a, v21
	v_fmac_f32_e32 v19, 0x3e9e377a, v21
	v_sub_u32_e32 v5, v70, v0
	v_mov_b32_e32 v0, s11
	v_add_co_u32_e32 v21, vcc, s10, v30
	v_addc_co_u32_e32 v30, vcc, v0, v31, vcc
	v_lshlrev_b64 v[0:1], 3, v[1:2]
	v_add_co_u32_e32 v2, vcc, v21, v0
	v_addc_co_u32_e32 v21, vcc, v30, v1, vcc
	v_lshlrev_b32_e32 v0, 3, v5
	v_add_co_u32_e32 v0, vcc, v2, v0
	v_addc_co_u32_e32 v1, vcc, 0, v21, vcc
	global_store_dwordx2 v[0:1], v[9:10], off
	v_add_co_u32_e32 v9, vcc, s0, v0
	v_addc_co_u32_e32 v10, vcc, 0, v1, vcc
	global_store_dwordx2 v[9:10], v[19:20], off offset:904
	v_add_co_u32_e32 v9, vcc, s4, v0
	v_addc_co_u32_e32 v10, vcc, 0, v1, vcc
	s_movk_i32 s0, 0x3000
	global_store_dwordx2 v[9:10], v[7:8], off offset:1808
	v_add_co_u32_e32 v7, vcc, s0, v0
	v_addc_co_u32_e32 v8, vcc, 0, v1, vcc
	v_add_u32_e32 v5, 0x7d, v70
	global_store_dwordx2 v[7:8], v[15:16], off offset:2712
	v_mul_hi_u32 v7, v5, s1
	s_movk_i32 s0, 0x4000
	v_add_co_u32_e32 v0, vcc, s0, v0
	v_addc_co_u32_e32 v1, vcc, 0, v1, vcc
	global_store_dwordx2 v[0:1], v[32:33], off offset:3616
	v_lshrrev_b32_e32 v0, 9, v7
	v_mul_u32_u24_e32 v1, 0x271, v0
	v_sub_u32_e32 v1, v5, v1
	s_movk_i32 s0, 0xc35
	v_mad_u32_u24 v5, v0, s0, v1
	v_lshlrev_b64 v[0:1], 3, v[5:6]
	v_add_co_u32_e32 v0, vcc, v2, v0
	v_addc_co_u32_e32 v1, vcc, v21, v1, vcc
	global_store_dwordx2 v[0:1], v[58:59], off
	v_add_u32_e32 v0, 0x271, v5
	v_mov_b32_e32 v1, v6
	v_lshlrev_b64 v[0:1], 3, v[0:1]
	v_add_co_u32_e32 v0, vcc, v2, v0
	v_addc_co_u32_e32 v1, vcc, v21, v1, vcc
	global_store_dwordx2 v[0:1], v[28:29], off
	v_add_u32_e32 v0, 0x4e2, v5
	v_mov_b32_e32 v1, v6
	v_lshlrev_b64 v[0:1], 3, v[0:1]
	v_add_co_u32_e32 v0, vcc, v2, v0
	v_addc_co_u32_e32 v1, vcc, v21, v1, vcc
	global_store_dwordx2 v[0:1], v[17:18], off
	v_add_u32_e32 v0, 0x753, v5
	v_mov_b32_e32 v1, v6
	v_lshlrev_b64 v[0:1], 3, v[0:1]
	v_add_u32_e32 v5, 0x9c4, v5
	v_add_co_u32_e32 v0, vcc, v2, v0
	v_addc_co_u32_e32 v1, vcc, v21, v1, vcc
	global_store_dwordx2 v[0:1], v[26:27], off
	v_lshlrev_b64 v[0:1], 3, v[5:6]
	v_add_u32_e32 v5, 0xfa, v70
	v_mul_hi_u32 v7, v5, s1
	v_add_co_u32_e32 v0, vcc, v2, v0
	v_addc_co_u32_e32 v1, vcc, v21, v1, vcc
	global_store_dwordx2 v[0:1], v[56:57], off
	v_lshrrev_b32_e32 v0, 9, v7
	v_mul_u32_u24_e32 v1, 0x271, v0
	v_sub_u32_e32 v1, v5, v1
	v_mad_u32_u24 v5, v0, s0, v1
	v_lshlrev_b64 v[0:1], 3, v[5:6]
	v_add_co_u32_e32 v0, vcc, v2, v0
	v_addc_co_u32_e32 v1, vcc, v21, v1, vcc
	global_store_dwordx2 v[0:1], v[34:35], off
	v_add_u32_e32 v0, 0x271, v5
	v_mov_b32_e32 v1, v6
	v_lshlrev_b64 v[0:1], 3, v[0:1]
	v_add_co_u32_e32 v0, vcc, v2, v0
	v_addc_co_u32_e32 v1, vcc, v21, v1, vcc
	global_store_dwordx2 v[0:1], v[61:62], off
	v_add_u32_e32 v0, 0x4e2, v5
	v_mov_b32_e32 v1, v6
	v_lshlrev_b64 v[0:1], 3, v[0:1]
	v_add_co_u32_e32 v0, vcc, v2, v0
	v_addc_co_u32_e32 v1, vcc, v21, v1, vcc
	global_store_dwordx2 v[0:1], v[68:69], off
	v_add_u32_e32 v0, 0x753, v5
	v_mov_b32_e32 v1, v6
	v_lshlrev_b64 v[0:1], 3, v[0:1]
	v_add_u32_e32 v5, 0x9c4, v5
	v_add_co_u32_e32 v0, vcc, v2, v0
	v_addc_co_u32_e32 v1, vcc, v21, v1, vcc
	global_store_dwordx2 v[0:1], v[50:51], off
	v_lshlrev_b64 v[0:1], 3, v[5:6]
	v_add_u32_e32 v5, 0x177, v70
	v_mul_hi_u32 v7, v5, s1
	v_add_co_u32_e32 v0, vcc, v2, v0
	v_addc_co_u32_e32 v1, vcc, v21, v1, vcc
	global_store_dwordx2 v[0:1], v[45:46], off
	v_lshrrev_b32_e32 v0, 9, v7
	v_mul_u32_u24_e32 v1, 0x271, v0
	v_sub_u32_e32 v1, v5, v1
	v_mad_u32_u24 v5, v0, s0, v1
	v_lshlrev_b64 v[0:1], 3, v[5:6]
	v_add_co_u32_e32 v0, vcc, v2, v0
	v_addc_co_u32_e32 v1, vcc, v21, v1, vcc
	global_store_dwordx2 v[0:1], v[48:49], off
	v_add_u32_e32 v0, 0x271, v5
	v_mov_b32_e32 v1, v6
	v_lshlrev_b64 v[0:1], 3, v[0:1]
	v_add_co_u32_e32 v0, vcc, v2, v0
	v_addc_co_u32_e32 v1, vcc, v21, v1, vcc
	global_store_dwordx2 v[0:1], v[43:44], off
	v_add_u32_e32 v0, 0x4e2, v5
	v_mov_b32_e32 v1, v6
	v_lshlrev_b64 v[0:1], 3, v[0:1]
	v_add_co_u32_e32 v0, vcc, v2, v0
	v_addc_co_u32_e32 v1, vcc, v21, v1, vcc
	global_store_dwordx2 v[0:1], v[41:42], off
	v_add_u32_e32 v0, 0x753, v5
	v_mov_b32_e32 v1, v6
	v_lshlrev_b64 v[0:1], 3, v[0:1]
	v_add_u32_e32 v5, 0x9c4, v5
	v_add_co_u32_e32 v0, vcc, v2, v0
	v_addc_co_u32_e32 v1, vcc, v21, v1, vcc
	global_store_dwordx2 v[0:1], v[38:39], off
	v_lshlrev_b64 v[0:1], 3, v[5:6]
	v_add_u32_e32 v5, 0x1f4, v70
	v_mul_hi_u32 v7, v5, s1
	v_add_co_u32_e32 v0, vcc, v2, v0
	v_addc_co_u32_e32 v1, vcc, v21, v1, vcc
	global_store_dwordx2 v[0:1], v[36:37], off
	v_lshrrev_b32_e32 v0, 9, v7
	v_mul_u32_u24_e32 v1, 0x271, v0
	v_sub_u32_e32 v1, v5, v1
	v_mad_u32_u24 v5, v0, s0, v1
	v_lshlrev_b64 v[0:1], 3, v[5:6]
	v_add_co_u32_e32 v0, vcc, v2, v0
	v_addc_co_u32_e32 v1, vcc, v21, v1, vcc
	global_store_dwordx2 v[0:1], v[24:25], off
	v_add_u32_e32 v0, 0x271, v5
	v_mov_b32_e32 v1, v6
	v_lshlrev_b64 v[0:1], 3, v[0:1]
	v_add_co_u32_e32 v0, vcc, v2, v0
	v_addc_co_u32_e32 v1, vcc, v21, v1, vcc
	global_store_dwordx2 v[0:1], v[22:23], off
	v_add_u32_e32 v0, 0x4e2, v5
	v_mov_b32_e32 v1, v6
	;; [unrolled: 6-line block ×3, first 2 shown]
	v_lshlrev_b64 v[0:1], 3, v[0:1]
	v_add_u32_e32 v5, 0x9c4, v5
	v_add_co_u32_e32 v0, vcc, v2, v0
	v_addc_co_u32_e32 v1, vcc, v21, v1, vcc
	global_store_dwordx2 v[0:1], v[11:12], off
	v_lshlrev_b64 v[0:1], 3, v[5:6]
	v_add_co_u32_e32 v0, vcc, v2, v0
	v_addc_co_u32_e32 v1, vcc, v21, v1, vcc
	global_store_dwordx2 v[0:1], v[3:4], off
.LBB0_15:
	s_endpgm
	.section	.rodata,"a",@progbits
	.p2align	6, 0x0
	.amdhsa_kernel fft_rtc_fwd_len3125_factors_5_5_5_5_5_wgs_125_tpt_125_halfLds_sp_op_CI_CI_unitstride_sbrr_dirReg
		.amdhsa_group_segment_fixed_size 0
		.amdhsa_private_segment_fixed_size 0
		.amdhsa_kernarg_size 104
		.amdhsa_user_sgpr_count 6
		.amdhsa_user_sgpr_private_segment_buffer 1
		.amdhsa_user_sgpr_dispatch_ptr 0
		.amdhsa_user_sgpr_queue_ptr 0
		.amdhsa_user_sgpr_kernarg_segment_ptr 1
		.amdhsa_user_sgpr_dispatch_id 0
		.amdhsa_user_sgpr_flat_scratch_init 0
		.amdhsa_user_sgpr_private_segment_size 0
		.amdhsa_uses_dynamic_stack 0
		.amdhsa_system_sgpr_private_segment_wavefront_offset 0
		.amdhsa_system_sgpr_workgroup_id_x 1
		.amdhsa_system_sgpr_workgroup_id_y 0
		.amdhsa_system_sgpr_workgroup_id_z 0
		.amdhsa_system_sgpr_workgroup_info 0
		.amdhsa_system_vgpr_workitem_id 0
		.amdhsa_next_free_vgpr 120
		.amdhsa_next_free_sgpr 28
		.amdhsa_reserve_vcc 1
		.amdhsa_reserve_flat_scratch 0
		.amdhsa_float_round_mode_32 0
		.amdhsa_float_round_mode_16_64 0
		.amdhsa_float_denorm_mode_32 3
		.amdhsa_float_denorm_mode_16_64 3
		.amdhsa_dx10_clamp 1
		.amdhsa_ieee_mode 1
		.amdhsa_fp16_overflow 0
		.amdhsa_exception_fp_ieee_invalid_op 0
		.amdhsa_exception_fp_denorm_src 0
		.amdhsa_exception_fp_ieee_div_zero 0
		.amdhsa_exception_fp_ieee_overflow 0
		.amdhsa_exception_fp_ieee_underflow 0
		.amdhsa_exception_fp_ieee_inexact 0
		.amdhsa_exception_int_div_zero 0
	.end_amdhsa_kernel
	.text
.Lfunc_end0:
	.size	fft_rtc_fwd_len3125_factors_5_5_5_5_5_wgs_125_tpt_125_halfLds_sp_op_CI_CI_unitstride_sbrr_dirReg, .Lfunc_end0-fft_rtc_fwd_len3125_factors_5_5_5_5_5_wgs_125_tpt_125_halfLds_sp_op_CI_CI_unitstride_sbrr_dirReg
                                        ; -- End function
	.section	.AMDGPU.csdata,"",@progbits
; Kernel info:
; codeLenInByte = 16676
; NumSgprs: 32
; NumVgprs: 120
; ScratchSize: 0
; MemoryBound: 0
; FloatMode: 240
; IeeeMode: 1
; LDSByteSize: 0 bytes/workgroup (compile time only)
; SGPRBlocks: 3
; VGPRBlocks: 29
; NumSGPRsForWavesPerEU: 32
; NumVGPRsForWavesPerEU: 120
; Occupancy: 2
; WaveLimiterHint : 1
; COMPUTE_PGM_RSRC2:SCRATCH_EN: 0
; COMPUTE_PGM_RSRC2:USER_SGPR: 6
; COMPUTE_PGM_RSRC2:TRAP_HANDLER: 0
; COMPUTE_PGM_RSRC2:TGID_X_EN: 1
; COMPUTE_PGM_RSRC2:TGID_Y_EN: 0
; COMPUTE_PGM_RSRC2:TGID_Z_EN: 0
; COMPUTE_PGM_RSRC2:TIDIG_COMP_CNT: 0
	.type	__hip_cuid_f3b5d7f0d2f40767,@object ; @__hip_cuid_f3b5d7f0d2f40767
	.section	.bss,"aw",@nobits
	.globl	__hip_cuid_f3b5d7f0d2f40767
__hip_cuid_f3b5d7f0d2f40767:
	.byte	0                               ; 0x0
	.size	__hip_cuid_f3b5d7f0d2f40767, 1

	.ident	"AMD clang version 19.0.0git (https://github.com/RadeonOpenCompute/llvm-project roc-6.4.0 25133 c7fe45cf4b819c5991fe208aaa96edf142730f1d)"
	.section	".note.GNU-stack","",@progbits
	.addrsig
	.addrsig_sym __hip_cuid_f3b5d7f0d2f40767
	.amdgpu_metadata
---
amdhsa.kernels:
  - .args:
      - .actual_access:  read_only
        .address_space:  global
        .offset:         0
        .size:           8
        .value_kind:     global_buffer
      - .offset:         8
        .size:           8
        .value_kind:     by_value
      - .actual_access:  read_only
        .address_space:  global
        .offset:         16
        .size:           8
        .value_kind:     global_buffer
      - .actual_access:  read_only
        .address_space:  global
        .offset:         24
        .size:           8
        .value_kind:     global_buffer
      - .actual_access:  read_only
        .address_space:  global
        .offset:         32
        .size:           8
        .value_kind:     global_buffer
      - .offset:         40
        .size:           8
        .value_kind:     by_value
      - .actual_access:  read_only
        .address_space:  global
        .offset:         48
        .size:           8
        .value_kind:     global_buffer
      - .actual_access:  read_only
        .address_space:  global
        .offset:         56
        .size:           8
        .value_kind:     global_buffer
      - .offset:         64
        .size:           4
        .value_kind:     by_value
      - .actual_access:  read_only
        .address_space:  global
        .offset:         72
        .size:           8
        .value_kind:     global_buffer
      - .actual_access:  read_only
        .address_space:  global
        .offset:         80
        .size:           8
        .value_kind:     global_buffer
      - .actual_access:  read_only
        .address_space:  global
        .offset:         88
        .size:           8
        .value_kind:     global_buffer
      - .actual_access:  write_only
        .address_space:  global
        .offset:         96
        .size:           8
        .value_kind:     global_buffer
    .group_segment_fixed_size: 0
    .kernarg_segment_align: 8
    .kernarg_segment_size: 104
    .language:       OpenCL C
    .language_version:
      - 2
      - 0
    .max_flat_workgroup_size: 125
    .name:           fft_rtc_fwd_len3125_factors_5_5_5_5_5_wgs_125_tpt_125_halfLds_sp_op_CI_CI_unitstride_sbrr_dirReg
    .private_segment_fixed_size: 0
    .sgpr_count:     32
    .sgpr_spill_count: 0
    .symbol:         fft_rtc_fwd_len3125_factors_5_5_5_5_5_wgs_125_tpt_125_halfLds_sp_op_CI_CI_unitstride_sbrr_dirReg.kd
    .uniform_work_group_size: 1
    .uses_dynamic_stack: false
    .vgpr_count:     120
    .vgpr_spill_count: 0
    .wavefront_size: 64
amdhsa.target:   amdgcn-amd-amdhsa--gfx906
amdhsa.version:
  - 1
  - 2
...

	.end_amdgpu_metadata
